;; amdgpu-corpus repo=ROCm/rocFFT kind=compiled arch=gfx1030 opt=O3
	.text
	.amdgcn_target "amdgcn-amd-amdhsa--gfx1030"
	.amdhsa_code_object_version 6
	.protected	bluestein_single_fwd_len3072_dim1_half_op_CI_CI ; -- Begin function bluestein_single_fwd_len3072_dim1_half_op_CI_CI
	.globl	bluestein_single_fwd_len3072_dim1_half_op_CI_CI
	.p2align	8
	.type	bluestein_single_fwd_len3072_dim1_half_op_CI_CI,@function
bluestein_single_fwd_len3072_dim1_half_op_CI_CI: ; @bluestein_single_fwd_len3072_dim1_half_op_CI_CI
; %bb.0:
	s_load_dwordx4 s[16:19], s[4:5], 0x28
	s_mov_b32 s7, 0
	s_mov_b32 s1, exec_lo
	s_waitcnt lgkmcnt(0)
	v_cmpx_lt_u64_e64 s[6:7], s[16:17]
	s_cbranch_execz .LBB0_2
; %bb.1:
	s_clause 0x1
	s_load_dwordx4 s[8:11], s[4:5], 0x18
	s_load_dwordx4 s[0:3], s[4:5], 0x0
	v_mov_b32_e32 v38, s7
	v_mov_b32_e32 v37, s6
	v_lshlrev_b32_e32 v40, 2, v0
	v_or_b32_e32 v38, 0x100, v0
	v_mul_u32_u24_e32 v18, 6, v0
	v_or_b32_e32 v61, 0x1000, v40
	v_or_b32_e32 v59, 0x1800, v40
	;; [unrolled: 1-line block ×9, first 2 shown]
	v_lshlrev_b32_e32 v71, 2, v18
	v_mul_u32_u24_e32 v20, 6, v38
	s_waitcnt lgkmcnt(0)
	s_load_dwordx4 s[12:15], s[8:9], 0x0
	s_add_u32 s6, s0, 0x3000
	s_addc_u32 s7, s1, 0
	v_lshlrev_b32_e32 v70, 2, v20
	s_waitcnt lgkmcnt(0)
	v_mad_u64_u32 v[2:3], null, s14, v37, 0
	v_mad_u64_u32 v[4:5], null, s12, v0, 0
	s_lshl_b64 s[8:9], s[12:13], 11
	v_mov_b32_e32 v1, v3
	v_mov_b32_e32 v3, v5
	v_mad_u64_u32 v[5:6], null, s15, v37, v[1:2]
	v_mad_u64_u32 v[6:7], null, s13, v0, v[3:4]
	v_or_b32_e32 v1, 0x200, v0
	s_mulk_i32 s13, 0xdc00
	v_mov_b32_e32 v3, v5
	v_lshlrev_b32_e32 v60, 2, v1
	v_mov_b32_e32 v5, v6
	s_clause 0x1
	global_load_dword v41, v40, s[0:1]
	global_load_dword v42, v60, s[0:1]
	v_lshlrev_b64 v[2:3], 2, v[2:3]
	v_lshlrev_b64 v[4:5], 2, v[4:5]
	global_load_dword v43, v61, s[0:1]
	v_add_co_u32 v2, vcc_lo, s18, v2
	v_add_co_ci_u32_e32 v3, vcc_lo, s19, v3, vcc_lo
	v_add_co_u32 v2, vcc_lo, v2, v4
	v_add_co_ci_u32_e32 v3, vcc_lo, v3, v5, vcc_lo
	;; [unrolled: 2-line block ×3, first 2 shown]
	global_load_dword v8, v[2:3], off
	v_add_co_u32 v6, vcc_lo, v4, s8
	global_load_dword v4, v[4:5], off
	v_add_co_ci_u32_e32 v7, vcc_lo, s9, v5, vcc_lo
	v_add_co_u32 v9, vcc_lo, v6, s8
	v_mul_lo_u16 v2, 0xab, v0
	v_add_co_ci_u32_e32 v10, vcc_lo, s9, v7, vcc_lo
	v_add_co_u32 v11, vcc_lo, v9, s8
	global_load_dword v3, v[6:7], off
	v_add_co_ci_u32_e32 v12, vcc_lo, s9, v10, vcc_lo
	v_add_co_u32 v5, vcc_lo, v11, s8
	global_load_dword v44, v59, s[0:1]
	global_load_dword v9, v[9:10], off
	v_add_co_ci_u32_e32 v6, vcc_lo, s9, v12, vcc_lo
	global_load_dword v45, v57, s[0:1]
	global_load_dword v14, v[11:12], off
	global_load_dword v46, v58, s[0:1]
	v_lshrrev_b16 v7, 10, v2
	v_mad_u64_u32 v[16:17], null, 0xffffdc00, s12, v[5:6]
	s_sub_i32 s12, s13, s12
	v_mul_lo_u16 v19, v7, 6
	v_add_nc_u32_e32 v17, s12, v17
	global_load_dword v15, v[5:6], off
	s_clause 0x2
	global_load_dword v47, v40, s[0:1] offset:1024
	global_load_dword v48, v63, s[0:1]
	global_load_dword v49, v65, s[0:1]
	global_load_dword v12, v[16:17], off
	v_add_co_u32 v5, vcc_lo, v16, s8
	global_load_dword v50, v62, s[0:1]
	v_add_co_ci_u32_e32 v6, vcc_lo, s9, v17, vcc_lo
	v_add_co_u32 v10, vcc_lo, v5, s8
	v_sub_nc_u16 v24, v0, v19
	v_add_co_ci_u32_e32 v11, vcc_lo, s9, v6, vcc_lo
	global_load_dword v13, v[5:6], off
	v_add_co_u32 v5, vcc_lo, v10, s8
	v_add_co_ci_u32_e32 v6, vcc_lo, s9, v11, vcc_lo
	global_load_dword v10, v[10:11], off
	v_add_co_u32 v16, vcc_lo, v5, s8
	;; [unrolled: 3-line block ×3, first 2 shown]
	v_add_co_ci_u32_e32 v6, vcc_lo, s9, v17, vcc_lo
	global_load_dword v16, v[16:17], off
	global_load_dword v17, v[5:6], off
	s_clause 0x1
	global_load_dword v51, v66, s[0:1]
	global_load_dword v52, v64, s[0:1]
	v_mul_u32_u24_e32 v5, 0x2aab, v38
	s_load_dwordx4 s[48:51], s[10:11], 0x0
	v_mul_u32_u24_e32 v6, 0x2aab, v1
	v_and_b32_e32 v24, 0xff, v24
	v_lshrrev_b32_e32 v5, 16, v5
	v_lshrrev_b32_e32 v6, 16, v6
	v_mul_lo_u16 v21, v5, 6
	v_mul_lo_u16 v23, v6, 6
	v_sub_nc_u16 v19, v38, v21
	s_waitcnt lgkmcnt(0)
	s_mul_i32 s47, s49, 0xffffdc00
	s_waitcnt vmcnt(20)
	v_lshrrev_b32_e32 v22, 16, v8
	v_mul_f16_sdwa v25, v41, v8 dst_sel:DWORD dst_unused:UNUSED_PAD src0_sel:WORD_1 src1_sel:DWORD
	s_waitcnt vmcnt(19)
	v_lshrrev_b32_e32 v27, 16, v4
	v_mul_f16_sdwa v21, v42, v4 dst_sel:DWORD dst_unused:UNUSED_PAD src0_sel:WORD_1 src1_sel:DWORD
	v_mul_f16_sdwa v26, v41, v22 dst_sel:DWORD dst_unused:UNUSED_PAD src0_sel:WORD_1 src1_sel:DWORD
	v_fma_f16 v22, v41, v22, -v25
	v_fma_f16 v21, v42, v27, -v21
	v_fmac_f16_e32 v26, v41, v8
	v_mul_f16_sdwa v8, v42, v27 dst_sel:DWORD dst_unused:UNUSED_PAD src0_sel:WORD_1 src1_sel:DWORD
	s_waitcnt vmcnt(18)
	v_lshrrev_b32_e32 v25, 16, v3
	v_mul_f16_sdwa v27, v43, v3 dst_sel:DWORD dst_unused:UNUSED_PAD src0_sel:WORD_1 src1_sel:DWORD
	v_pack_b32_f16 v22, v26, v22
	v_fmac_f16_e32 v8, v42, v4
	v_mul_f16_sdwa v4, v43, v25 dst_sel:DWORD dst_unused:UNUSED_PAD src0_sel:WORD_1 src1_sel:DWORD
	s_waitcnt vmcnt(16)
	v_lshrrev_b32_e32 v26, 16, v9
	v_mul_f16_sdwa v28, v44, v9 dst_sel:DWORD dst_unused:UNUSED_PAD src0_sel:WORD_1 src1_sel:DWORD
	v_pack_b32_f16 v8, v8, v21
	v_fma_f16 v25, v43, v25, -v27
	v_fmac_f16_e32 v4, v43, v3
	v_mul_f16_sdwa v3, v44, v26 dst_sel:DWORD dst_unused:UNUSED_PAD src0_sel:WORD_1 src1_sel:DWORD
	v_fma_f16 v21, v44, v26, -v28
	s_waitcnt vmcnt(14)
	v_lshrrev_b32_e32 v26, 16, v14
	v_mul_f16_sdwa v27, v45, v14 dst_sel:DWORD dst_unused:UNUSED_PAD src0_sel:WORD_1 src1_sel:DWORD
	v_pack_b32_f16 v4, v4, v25
	v_fmac_f16_e32 v3, v44, v9
	s_waitcnt vmcnt(12)
	v_lshrrev_b32_e32 v25, 16, v15
	v_mul_f16_sdwa v9, v45, v26 dst_sel:DWORD dst_unused:UNUSED_PAD src0_sel:WORD_1 src1_sel:DWORD
	v_fma_f16 v26, v45, v26, -v27
	v_mul_f16_sdwa v27, v46, v15 dst_sel:DWORD dst_unused:UNUSED_PAD src0_sel:WORD_1 src1_sel:DWORD
	v_pack_b32_f16 v3, v3, v21
	v_mul_f16_sdwa v28, v46, v25 dst_sel:DWORD dst_unused:UNUSED_PAD src0_sel:WORD_1 src1_sel:DWORD
	v_fmac_f16_e32 v9, v45, v14
	s_waitcnt vmcnt(8)
	v_lshrrev_b32_e32 v14, 16, v12
	v_fma_f16 v21, v46, v25, -v27
	v_fmac_f16_e32 v28, v46, v15
	v_pack_b32_f16 v9, v9, v26
	v_mul_f16_sdwa v25, v47, v14 dst_sel:DWORD dst_unused:UNUSED_PAD src0_sel:WORD_1 src1_sel:DWORD
	v_mul_f16_sdwa v15, v47, v12 dst_sel:DWORD dst_unused:UNUSED_PAD src0_sel:WORD_1 src1_sel:DWORD
	s_waitcnt vmcnt(6)
	v_lshrrev_b32_e32 v26, 16, v13
	v_pack_b32_f16 v21, v28, v21
	v_fmac_f16_e32 v25, v47, v12
	v_fma_f16 v14, v47, v14, -v15
	v_mul_f16_sdwa v12, v48, v26 dst_sel:DWORD dst_unused:UNUSED_PAD src0_sel:WORD_1 src1_sel:DWORD
	s_waitcnt vmcnt(5)
	v_lshrrev_b32_e32 v27, 16, v10
	v_mul_f16_sdwa v15, v48, v13 dst_sel:DWORD dst_unused:UNUSED_PAD src0_sel:WORD_1 src1_sel:DWORD
	v_mul_f16_sdwa v28, v49, v10 dst_sel:DWORD dst_unused:UNUSED_PAD src0_sel:WORD_1 src1_sel:DWORD
	v_pack_b32_f16 v14, v25, v14
	v_fmac_f16_e32 v12, v48, v13
	v_mul_f16_sdwa v13, v49, v27 dst_sel:DWORD dst_unused:UNUSED_PAD src0_sel:WORD_1 src1_sel:DWORD
	v_fma_f16 v15, v48, v26, -v15
	s_waitcnt vmcnt(4)
	v_lshrrev_b32_e32 v26, 16, v11
	v_fma_f16 v25, v49, v27, -v28
	v_mul_f16_sdwa v27, v50, v11 dst_sel:DWORD dst_unused:UNUSED_PAD src0_sel:WORD_1 src1_sel:DWORD
	v_fmac_f16_e32 v13, v49, v10
	s_waitcnt vmcnt(3)
	v_lshrrev_b32_e32 v10, 16, v16
	ds_write2st64_b32 v40, v22, v14 offset1:4
	s_waitcnt vmcnt(2)
	v_lshrrev_b32_e32 v22, 16, v17
	v_mul_f16_sdwa v14, v50, v26 dst_sel:DWORD dst_unused:UNUSED_PAD src0_sel:WORD_1 src1_sel:DWORD
	v_fma_f16 v26, v50, v26, -v27
	s_waitcnt vmcnt(1)
	v_mul_f16_sdwa v27, v51, v16 dst_sel:DWORD dst_unused:UNUSED_PAD src0_sel:WORD_1 src1_sel:DWORD
	v_mul_f16_sdwa v28, v51, v10 dst_sel:DWORD dst_unused:UNUSED_PAD src0_sel:WORD_1 src1_sel:DWORD
	s_waitcnt vmcnt(0)
	v_mul_f16_sdwa v29, v52, v17 dst_sel:DWORD dst_unused:UNUSED_PAD src0_sel:WORD_1 src1_sel:DWORD
	v_mul_f16_sdwa v30, v52, v22 dst_sel:DWORD dst_unused:UNUSED_PAD src0_sel:WORD_1 src1_sel:DWORD
	v_fmac_f16_e32 v14, v50, v11
	v_fma_f16 v10, v51, v10, -v27
	v_fmac_f16_e32 v28, v51, v16
	v_fma_f16 v11, v52, v22, -v29
	v_fmac_f16_e32 v30, v52, v17
	v_pack_b32_f16 v12, v12, v15
	v_pack_b32_f16 v13, v13, v25
	;; [unrolled: 1-line block ×5, first 2 shown]
	ds_write2st64_b32 v40, v8, v12 offset0:8 offset1:12
	ds_write2st64_b32 v40, v4, v13 offset0:16 offset1:20
	;; [unrolled: 1-line block ×5, first 2 shown]
	s_waitcnt lgkmcnt(0)
	s_barrier
	buffer_gl0_inv
	ds_read2st64_b32 v[3:4], v40 offset1:4
	ds_read2st64_b32 v[8:9], v40 offset0:8 offset1:12
	ds_read2st64_b32 v[10:11], v40 offset0:16 offset1:20
	;; [unrolled: 1-line block ×5, first 2 shown]
	v_sub_nc_u16 v25, v1, v23
	v_mul_lo_u16 v21, v19, 12
	s_waitcnt lgkmcnt(0)
	s_barrier
	buffer_gl0_inv
	v_mul_lo_u16 v18, v25, 12
	v_and_b32_e32 v22, 0xffff, v21
	v_mad_u64_u32 v[20:21], null, v24, 12, s[2:3]
	v_and_b32_e32 v18, 0xffff, v18
	v_add_co_u32 v22, s0, s2, v22
	v_add_co_ci_u32_e64 v23, null, s3, 0, s0
	v_pk_add_f16 v26, v3, v10
	v_pk_add_f16 v27, v8, v12
	;; [unrolled: 1-line block ×5, first 2 shown]
	v_pk_add_f16 v11, v11, v15 neg_lo:[0,1] neg_hi:[0,1]
	v_pk_add_f16 v33, v13, v17
	v_pk_add_f16 v28, v10, v14
	v_pk_add_f16 v10, v10, v14 neg_lo:[0,1] neg_hi:[0,1]
	v_pk_add_f16 v12, v12, v16 neg_lo:[0,1] neg_hi:[0,1]
	v_pk_add_f16 v31, v9, v13
	v_pk_fma_f16 v8, v29, 0.5, v8 op_sel_hi:[1,0,1] neg_lo:[1,0,0] neg_hi:[1,0,0]
	v_pk_add_f16 v13, v13, v17 neg_lo:[0,1] neg_hi:[0,1]
	v_pk_add_f16 v14, v26, v14
	v_pk_add_f16 v16, v27, v16
	v_pk_fma_f16 v4, v32, 0.5, v4 op_sel_hi:[1,0,1] neg_lo:[1,0,0] neg_hi:[1,0,0]
	v_pk_mul_f16 v11, 0x3aee, v11 op_sel_hi:[0,1]
	v_pk_fma_f16 v27, v33, 0.5, v9 op_sel_hi:[1,0,1] neg_lo:[1,0,0] neg_hi:[1,0,0]
	v_pk_fma_f16 v26, v28, 0.5, v3 op_sel_hi:[1,0,1] neg_lo:[1,0,0] neg_hi:[1,0,0]
	v_pk_mul_f16 v10, 0x3aee, v10 op_sel_hi:[0,1]
	v_pk_add_f16 v15, v30, v15
	v_pk_add_f16 v17, v31, v17
	v_pk_fma_f16 v29, 0x3aee, v12, v8 op_sel:[0,0,1] op_sel_hi:[0,1,0]
	v_pk_fma_f16 v8, 0x3aee, v12, v8 op_sel:[0,0,1] op_sel_hi:[0,1,0] neg_lo:[0,1,0] neg_hi:[0,1,0]
	v_pk_add_f16 v3, v14, v16
	v_pk_add_f16 v9, v14, v16 neg_lo:[0,1] neg_hi:[0,1]
	v_pk_add_f16 v14, v4, v11 op_sel:[0,1] op_sel_hi:[1,0]
	v_pk_add_f16 v4, v4, v11 op_sel:[0,1] op_sel_hi:[1,0] neg_lo:[0,1] neg_hi:[0,1]
	v_pk_fma_f16 v11, 0x3aee, v13, v27 op_sel:[0,0,1] op_sel_hi:[0,1,0]
	v_pk_fma_f16 v12, 0x3aee, v13, v27 op_sel:[0,0,1] op_sel_hi:[0,1,0] neg_lo:[0,1,0] neg_hi:[0,1,0]
	v_pk_add_f16 v28, v26, v10 op_sel:[0,1] op_sel_hi:[1,0]
	v_pk_add_f16 v26, v26, v10 op_sel:[0,1] op_sel_hi:[1,0] neg_lo:[0,1] neg_hi:[0,1]
	v_pk_add_f16 v10, v15, v17
	v_pk_add_f16 v13, v15, v17 neg_lo:[0,1] neg_hi:[0,1]
	v_lshrrev_b32_e32 v16, 16, v29
	v_bfi_b32 v17, 0xffff, v29, v8
	v_mul_f16_e32 v27, 0x3aee, v8
	v_lshrrev_b32_e32 v30, 16, v11
	v_mul_f16_e32 v31, 0x3aee, v12
	v_bfi_b32 v11, 0xffff, v11, v12
	v_pk_mul_f16 v32, v17, 0.5 op_sel_hi:[1,0]
	v_fmac_f16_e32 v27, 0.5, v16
	v_mul_f16_e32 v16, 0xbaee, v16
	v_fmac_f16_e32 v31, 0.5, v30
	v_mul_f16_e32 v30, 0xbaee, v30
	v_pk_mul_f16 v33, v11, 0.5 op_sel_hi:[1,0]
	v_bfi_b32 v15, 0xffff, v26, v28
	v_fmac_f16_e32 v16, 0.5, v8
	v_pk_fma_f16 v17, 0xbaee3aee, v17, v32 op_sel:[0,0,1] op_sel_hi:[1,1,0] neg_lo:[0,0,1] neg_hi:[0,0,1]
	v_fmac_f16_e32 v30, 0.5, v12
	v_pk_fma_f16 v11, 0xbaee3aee, v11, v33 op_sel:[0,0,1] op_sel_hi:[1,1,0] neg_lo:[0,0,1] neg_hi:[0,0,1]
	v_bfi_b32 v29, 0xffff, v4, v14
	v_add_f16_sdwa v33, v26, v16 dst_sel:DWORD dst_unused:UNUSED_PAD src0_sel:WORD_1 src1_sel:DWORD
	v_pk_add_f16 v8, v15, v17
	v_pack_b32_f16 v15, v16, v17
	v_sub_f16_sdwa v16, v28, v17 dst_sel:DWORD dst_unused:UNUSED_PAD src0_sel:WORD_1 src1_sel:WORD_1
	v_pack_b32_f16 v17, v30, v11
	v_add_f16_e32 v34, v28, v27
	v_sub_f16_e32 v27, v28, v27
	v_pk_add_f16 v26, v26, v15 op_sel:[1,0] op_sel_hi:[0,1] neg_lo:[0,1] neg_hi:[0,1]
	v_add_f16_e32 v32, v14, v31
	v_add_f16_sdwa v28, v4, v30 dst_sel:DWORD dst_unused:UNUSED_PAD src0_sel:WORD_1 src1_sel:DWORD
	v_sub_f16_e32 v31, v14, v31
	v_pk_add_f16 v12, v29, v11
	v_sub_f16_sdwa v29, v14, v11 dst_sel:DWORD dst_unused:UNUSED_PAD src0_sel:WORD_1 src1_sel:WORD_1
	v_pk_add_f16 v30, v4, v17 op_sel:[1,0] op_sel_hi:[0,1] neg_lo:[0,1] neg_hi:[0,1]
	v_pack_b32_f16 v4, v34, v33
	v_alignbit_b32 v15, v16, v26, 16
	v_pack_b32_f16 v14, v27, v26
	v_pack_b32_f16 v11, v32, v28
	v_alignbit_b32 v17, v29, v30, 16
	v_pack_b32_f16 v16, v31, v30
	ds_write2_b64 v71, v[3:4], v[8:9] offset1:1
	ds_write_b64 v71, v[14:15] offset:16
	ds_write2_b64 v70, v[10:11], v[12:13] offset1:1
	ds_write_b64 v70, v[16:17] offset:16
	v_add_co_u32 v3, s0, s2, v18
	v_add_co_ci_u32_e64 v4, null, s3, 0, s0
	s_waitcnt lgkmcnt(0)
	s_barrier
	buffer_gl0_inv
	s_clause 0x2
	global_load_dwordx3 v[10:12], v[20:21], off
	global_load_dwordx3 v[13:15], v[22:23], off
	;; [unrolled: 1-line block ×3, first 2 shown]
	v_lshrrev_b16 v3, 12, v2
	v_mul_u32_u24_e32 v4, 0xaab, v38
	v_mov_b32_e32 v9, 24
	v_mul_u32_u24_e32 v8, 0xaab, v1
	v_mul_lo_u16 v23, v6, 24
	v_mul_lo_u16 v20, v3, 24
	v_lshrrev_b32_e32 v4, 16, v4
	v_mul_u32_u24_sdwa v9, v7, v9 dst_sel:DWORD dst_unused:UNUSED_PAD src0_sel:WORD_0 src1_sel:DWORD
	v_lshrrev_b32_e32 v8, 16, v8
	v_mul_lo_u16 v22, v5, 24
	v_sub_nc_u16 v7, v0, v20
	v_mul_lo_u16 v20, v4, 24
	v_or_b32_e32 v9, v9, v24
	v_mul_lo_u16 v21, v8, 24
	v_or_b32_e32 v27, v22, v19
	v_and_b32_e32 v5, 0xff, v7
	v_sub_nc_u16 v6, v38, v20
	v_or_b32_e32 v35, v23, v25
	v_sub_nc_u16 v7, v1, v21
	ds_read2st64_b32 v[19:20], v40 offset0:24 offset1:28
	ds_read2st64_b32 v[21:22], v40 offset0:32 offset1:36
	;; [unrolled: 1-line block ×3, first 2 shown]
	v_mul_lo_u16 v31, v6, 12
	v_lshlrev_b32_e32 v75, 2, v9
	ds_read2st64_b32 v[29:30], v40 offset0:40 offset1:44
	v_mov_b32_e32 v28, 2
	v_mul_lo_u16 v36, v7, 12
	v_and_b32_e32 v9, 0xffff, v31
	ds_read2st64_b32 v[31:32], v40 offset0:8 offset1:12
	ds_read2st64_b32 v[33:34], v40 offset1:4
	v_mad_u64_u32 v[23:24], null, v5, 12, s[2:3]
	v_lshlrev_b32_sdwa v76, v28, v35 dst_sel:DWORD dst_unused:UNUSED_PAD src0_sel:DWORD src1_sel:WORD_0
	v_add_co_u32 v35, s0, s2, v9
	v_lshlrev_b32_sdwa v77, v28, v27 dst_sel:DWORD dst_unused:UNUSED_PAD src0_sel:DWORD src1_sel:WORD_0
	v_and_b32_e32 v27, 0xffff, v36
	v_add_co_ci_u32_e64 v36, null, s3, 0, s0
	s_waitcnt vmcnt(0) lgkmcnt(0)
	v_lshrrev_b32_e32 v9, 16, v19
	v_lshrrev_b32_e32 v39, 16, v22
	v_lshrrev_b32_e32 v53, 16, v20
	v_lshrrev_b32_e32 v54, 16, v25
	v_lshrrev_b32_e32 v55, 16, v26
	v_lshrrev_b32_e32 v67, 16, v29
	v_lshrrev_b32_e32 v56, 16, v21
	v_lshrrev_b32_e32 v68, 16, v30
	v_lshrrev_b32_e32 v69, 16, v32
	v_lshrrev_b32_e32 v72, 16, v33
	v_lshrrev_b32_e32 v73, 16, v34
	v_lshrrev_b32_e32 v74, 16, v31
	s_barrier
	buffer_gl0_inv
	v_mul_lo_u16 v4, 0x60, v4
	v_mul_lo_u16 v8, 0x60, v8
	v_mul_f16_sdwa v78, v19, v11 dst_sel:DWORD dst_unused:UNUSED_PAD src0_sel:DWORD src1_sel:WORD_1
	v_mul_f16_sdwa v79, v9, v11 dst_sel:DWORD dst_unused:UNUSED_PAD src0_sel:DWORD src1_sel:WORD_1
	;; [unrolled: 1-line block ×18, first 2 shown]
	v_fma_f16 v19, v19, v11, -v79
	v_fma_f16 v22, v22, v12, -v80
	v_fmac_f16_e32 v78, v9, v11
	v_fmac_f16_e32 v81, v39, v12
	;; [unrolled: 1-line block ×3, first 2 shown]
	v_fma_f16 v9, v32, v10, -v95
	v_fma_f16 v20, v20, v14, -v82
	;; [unrolled: 1-line block ×4, first 2 shown]
	v_fmac_f16_e32 v86, v54, v13
	v_fmac_f16_e32 v83, v53, v14
	;; [unrolled: 1-line block ×3, first 2 shown]
	v_fma_f16 v26, v26, v16, -v85
	v_fma_f16 v21, v21, v17, -v88
	v_fma_f16 v30, v30, v18, -v90
	v_fmac_f16_e32 v87, v55, v16
	v_fmac_f16_e32 v91, v56, v17
	;; [unrolled: 1-line block ×3, first 2 shown]
	v_sub_f16_e32 v19, v33, v19
	v_sub_f16_e32 v32, v72, v78
	;; [unrolled: 1-line block ×12, first 2 shown]
	v_fma_f16 v67, v72, 2.0, -v32
	v_fma_f16 v9, v9, 2.0, -v22
	v_fma_f16 v68, v94, 2.0, -v39
	v_fma_f16 v33, v33, 2.0, -v19
	v_sub_f16_e32 v39, v19, v39
	v_add_f16_e32 v22, v32, v22
	v_fma_f16 v34, v34, 2.0, -v20
	v_fma_f16 v25, v25, 2.0, -v29
	;; [unrolled: 1-line block ×3, first 2 shown]
	v_sub_f16_e32 v53, v20, v53
	v_add_f16_e32 v29, v54, v29
	v_fma_f16 v72, v73, 2.0, -v54
	v_fma_f16 v31, v31, 2.0, -v21
	;; [unrolled: 1-line block ×5, first 2 shown]
	v_sub_f16_e32 v55, v21, v55
	v_add_f16_e32 v30, v56, v30
	v_sub_f16_e32 v9, v33, v9
	v_sub_f16_e32 v68, v67, v68
	v_pack_b32_f16 v78, v39, v22
	v_fma_f16 v19, v19, 2.0, -v39
	v_fma_f16 v22, v32, 2.0, -v22
	;; [unrolled: 1-line block ×4, first 2 shown]
	v_pack_b32_f16 v29, v53, v29
	v_sub_f16_e32 v25, v34, v25
	v_sub_f16_e32 v53, v72, v69
	;; [unrolled: 1-line block ×4, first 2 shown]
	v_fma_f16 v21, v21, 2.0, -v55
	v_fma_f16 v39, v56, 2.0, -v30
	v_pack_b32_f16 v30, v55, v30
	v_pack_b32_f16 v55, v9, v68
	v_fma_f16 v9, v33, 2.0, -v9
	v_fma_f16 v33, v67, 2.0, -v68
	v_pack_b32_f16 v19, v19, v22
	v_pack_b32_f16 v20, v20, v32
	v_fma_f16 v22, v34, 2.0, -v25
	v_fma_f16 v32, v72, 2.0, -v53
	;; [unrolled: 1-line block ×4, first 2 shown]
	v_pack_b32_f16 v9, v9, v33
	v_pack_b32_f16 v25, v25, v53
	;; [unrolled: 1-line block ×6, first 2 shown]
	ds_write2_b32 v75, v55, v78 offset0:12 offset1:18
	ds_write2_b32 v75, v9, v19 offset1:6
	ds_write2_b32 v77, v22, v20 offset1:6
	ds_write2_b32 v77, v25, v29 offset0:12 offset1:18
	ds_write2_b32 v76, v31, v21 offset1:6
	ds_write2_b32 v76, v26, v30 offset0:12 offset1:18
	v_add_co_u32 v25, s0, s2, v27
	v_add_co_ci_u32_e64 v26, null, s3, 0, s0
	s_waitcnt lgkmcnt(0)
	s_barrier
	buffer_gl0_inv
	s_clause 0x2
	global_load_dwordx3 v[19:21], v[23:24], off offset:72
	global_load_dwordx3 v[22:24], v[35:36], off offset:72
	;; [unrolled: 1-line block ×3, first 2 shown]
	v_mul_u32_u24_e32 v31, 0x2ab, v38
	v_mul_u32_u24_e32 v9, 0x2ab, v1
	v_lshrrev_b16 v30, 14, v2
	v_mov_b32_e32 v2, 0x60
	v_or_b32_e32 v39, v4, v6
	v_lshrrev_b32_e32 v31, 16, v31
	v_lshrrev_b32_e32 v29, 16, v9
	v_mul_lo_u16 v9, 0x60, v30
	v_mul_u32_u24_sdwa v2, v3, v2 dst_sel:DWORD dst_unused:UNUSED_PAD src0_sel:WORD_0 src1_sel:DWORD
	v_or_b32_e32 v67, v8, v7
	v_mul_lo_u16 v33, 0x60, v31
	v_mul_lo_u16 v3, 0x60, v29
	v_sub_nc_u16 v9, v0, v9
	v_lshlrev_b32_sdwa v81, v28, v39 dst_sel:DWORD dst_unused:UNUSED_PAD src0_sel:DWORD src1_sel:WORD_0
	v_lshlrev_b32_sdwa v80, v28, v67 dst_sel:DWORD dst_unused:UNUSED_PAD src0_sel:DWORD src1_sel:WORD_0
	v_sub_nc_u16 v34, v38, v33
	v_sub_nc_u16 v32, v1, v3
	v_and_b32_e32 v33, 0xff, v9
	v_or_b32_e32 v9, v2, v5
	ds_read2st64_b32 v[1:2], v40 offset0:24 offset1:28
	ds_read2st64_b32 v[3:4], v40 offset0:32 offset1:36
	;; [unrolled: 1-line block ×4, first 2 shown]
	v_mul_lo_u16 v53, v34, 12
	v_mul_lo_u16 v68, v32, 12
	v_mad_u64_u32 v[35:36], null, v33, 12, s[2:3]
	v_lshlrev_b32_e32 v79, 2, v9
	v_and_b32_e32 v9, 0xffff, v53
	ds_read2st64_b32 v[53:54], v40 offset0:8 offset1:12
	ds_read2st64_b32 v[55:56], v40 offset1:4
	v_and_b32_e32 v39, 0xffff, v68
	s_waitcnt vmcnt(0) lgkmcnt(0)
	s_barrier
	v_add_co_u32 v67, s0, s2, v9
	v_add_co_ci_u32_e64 v68, null, s3, 0, s0
	buffer_gl0_inv
	v_mul_lo_u16 v29, 0x180, v29
	v_lshrrev_b32_e32 v9, 16, v1
	v_lshrrev_b32_e32 v69, 16, v4
	;; [unrolled: 1-line block ×12, first 2 shown]
	v_mul_f16_sdwa v88, v1, v20 dst_sel:DWORD dst_unused:UNUSED_PAD src0_sel:DWORD src1_sel:WORD_1
	v_mul_f16_sdwa v89, v9, v20 dst_sel:DWORD dst_unused:UNUSED_PAD src0_sel:DWORD src1_sel:WORD_1
	;; [unrolled: 1-line block ×18, first 2 shown]
	v_fma_f16 v1, v1, v20, -v89
	v_fma_f16 v2, v2, v23, -v92
	;; [unrolled: 1-line block ×4, first 2 shown]
	v_fmac_f16_e32 v88, v9, v20
	v_fma_f16 v7, v7, v24, -v97
	v_fmac_f16_e32 v90, v69, v21
	v_fmac_f16_e32 v93, v72, v23
	;; [unrolled: 1-line block ×5, first 2 shown]
	v_fma_f16 v9, v54, v19, -v105
	v_fma_f16 v6, v6, v25, -v96
	;; [unrolled: 1-line block ×4, first 2 shown]
	v_fmac_f16_e32 v99, v78, v25
	v_fmac_f16_e32 v100, v82, v26
	v_fmac_f16_e32 v103, v83, v27
	v_sub_f16_e32 v1, v55, v1
	v_sub_f16_e32 v2, v56, v2
	;; [unrolled: 1-line block ×12, first 2 shown]
	v_fma_f16 v55, v55, 2.0, -v1
	v_fma_f16 v9, v9, 2.0, -v4
	;; [unrolled: 1-line block ×3, first 2 shown]
	v_sub_f16_e32 v54, v1, v54
	v_add_f16_e32 v4, v69, v4
	v_fma_f16 v83, v85, 2.0, -v69
	v_fma_f16 v5, v5, 2.0, -v7
	;; [unrolled: 1-line block ×3, first 2 shown]
	v_sub_f16_e32 v72, v2, v72
	v_add_f16_e32 v7, v73, v7
	v_fma_f16 v56, v56, 2.0, -v2
	v_fma_f16 v85, v86, 2.0, -v73
	;; [unrolled: 1-line block ×4, first 2 shown]
	v_sub_f16_e32 v74, v3, v74
	v_add_f16_e32 v8, v78, v8
	v_fma_f16 v53, v53, 2.0, -v3
	v_fma_f16 v87, v87, 2.0, -v78
	;; [unrolled: 1-line block ×3, first 2 shown]
	v_pack_b32_f16 v54, v54, v4
	v_fma_f16 v4, v69, 2.0, -v4
	v_fma_f16 v2, v2, 2.0, -v72
	;; [unrolled: 1-line block ×3, first 2 shown]
	v_pack_b32_f16 v7, v72, v7
	v_sub_f16_e32 v9, v55, v9
	v_sub_f16_e32 v72, v83, v82
	v_fma_f16 v3, v3, 2.0, -v74
	v_fma_f16 v73, v78, 2.0, -v8
	v_pack_b32_f16 v8, v74, v8
	v_sub_f16_e32 v5, v56, v5
	v_sub_f16_e32 v74, v85, v84
	;; [unrolled: 1-line block ×4, first 2 shown]
	v_pack_b32_f16 v82, v9, v72
	v_fma_f16 v9, v55, 2.0, -v9
	v_fma_f16 v55, v83, 2.0, -v72
	v_pack_b32_f16 v1, v1, v4
	v_fma_f16 v4, v56, 2.0, -v5
	v_fma_f16 v56, v85, 2.0, -v74
	;; [unrolled: 3-line block ×3, first 2 shown]
	v_pack_b32_f16 v9, v9, v55
	v_pack_b32_f16 v4, v4, v56
	;; [unrolled: 1-line block ×6, first 2 shown]
	ds_write2_b32 v79, v82, v54 offset0:48 offset1:72
	ds_write2_b32 v79, v9, v1 offset1:24
	ds_write2_b32 v81, v4, v2 offset1:24
	ds_write2_b32 v81, v5, v7 offset0:48 offset1:72
	ds_write2_b32 v80, v53, v3 offset1:24
	ds_write2_b32 v80, v6, v8 offset0:48 offset1:72
	v_add_co_u32 v7, s0, s2, v39
	v_add_co_ci_u32_e64 v8, null, s3, 0, s0
	s_waitcnt lgkmcnt(0)
	s_barrier
	buffer_gl0_inv
	s_clause 0x2
	global_load_dwordx3 v[1:3], v[35:36], off offset:360
	global_load_dwordx3 v[4:6], v[67:68], off offset:360
	global_load_dwordx3 v[7:9], v[7:8], off offset:360
	v_mov_b32_e32 v36, 0x180
	v_or_b32_e32 v55, v29, v32
	v_mov_b32_e32 v39, 0
	v_add_nc_u32_e32 v35, 0xffffff80, v0
	v_mul_u32_u24_sdwa v53, v30, v36 dst_sel:DWORD dst_unused:UNUSED_PAD src0_sel:WORD_0 src1_sel:DWORD
	v_mul_lo_u16 v30, 0x180, v31
	v_lshlrev_b32_sdwa v67, v28, v55 dst_sel:DWORD dst_unused:UNUSED_PAD src0_sel:DWORD src1_sel:WORD_0
	v_cmp_gt_u64_e32 vcc_lo, 0x180, v[38:39]
	v_or_b32_e32 v56, v53, v33
	v_or_b32_e32 v54, v30, v34
	ds_read2st64_b32 v[29:30], v40 offset0:24 offset1:28
	ds_read2st64_b32 v[31:32], v40 offset0:32 offset1:36
	;; [unrolled: 1-line block ×3, first 2 shown]
	v_cndmask_b32_e32 v78, v35, v38, vcc_lo
	v_lshlrev_b32_e32 v69, 2, v56
	v_lshlrev_b32_sdwa v68, v28, v54 dst_sel:DWORD dst_unused:UNUSED_PAD src0_sel:DWORD src1_sel:WORD_0
	ds_read2st64_b32 v[53:54], v40 offset0:40 offset1:44
	ds_read2st64_b32 v[55:56], v40 offset1:4
	ds_read2st64_b32 v[82:83], v40 offset0:8 offset1:12
	v_mul_i32_i24_e32 v72, 12, v78
	v_mad_u64_u32 v[35:36], null, v0, 12, s[2:3]
	v_mul_hi_i32_i24_e32 v73, 12, v78
	v_add_nc_u32_e32 v74, 0x200, v69
	v_add_co_u32 v84, vcc_lo, s2, v72
	v_add_nc_u32_e32 v72, 0x200, v67
	v_add_co_ci_u32_e32 v85, vcc_lo, s3, v73, vcc_lo
	v_add_nc_u32_e32 v73, 0x200, v68
	s_waitcnt vmcnt(0) lgkmcnt(0)
	v_lshrrev_b32_e32 v28, 16, v29
	v_lshrrev_b32_e32 v86, 16, v32
	;; [unrolled: 1-line block ×12, first 2 shown]
	s_barrier
	buffer_gl0_inv
	v_mul_f16_sdwa v98, v28, v2 dst_sel:DWORD dst_unused:UNUSED_PAD src0_sel:DWORD src1_sel:WORD_1
	v_mul_f16_sdwa v102, v88, v4 dst_sel:DWORD dst_unused:UNUSED_PAD src0_sel:DWORD src1_sel:WORD_1
	;; [unrolled: 1-line block ×8, first 2 shown]
	v_fma_f16 v33, v33, v4, -v102
	v_fma_f16 v34, v34, v7, -v103
	v_mul_f16_sdwa v102, v91, v6 dst_sel:DWORD dst_unused:UNUSED_PAD src0_sel:DWORD src1_sel:WORD_1
	v_mul_f16_sdwa v103, v92, v9 dst_sel:DWORD dst_unused:UNUSED_PAD src0_sel:DWORD src1_sel:WORD_1
	;; [unrolled: 1-line block ×4, first 2 shown]
	v_fma_f16 v29, v29, v2, -v98
	v_fma_f16 v30, v30, v5, -v100
	v_mul_f16_sdwa v98, v32, v3 dst_sel:DWORD dst_unused:UNUSED_PAD src0_sel:DWORD src1_sel:WORD_1
	v_mul_f16_sdwa v100, v31, v8 dst_sel:DWORD dst_unused:UNUSED_PAD src0_sel:DWORD src1_sel:WORD_1
	v_fma_f16 v32, v32, v3, -v99
	v_fma_f16 v31, v31, v8, -v105
	v_mul_f16_sdwa v99, v53, v6 dst_sel:DWORD dst_unused:UNUSED_PAD src0_sel:DWORD src1_sel:WORD_1
	v_mul_f16_sdwa v105, v54, v9 dst_sel:DWORD dst_unused:UNUSED_PAD src0_sel:DWORD src1_sel:WORD_1
	;; [unrolled: 4-line block ×3, first 2 shown]
	v_fmac_f16_e32 v97, v28, v2
	v_fmac_f16_e32 v98, v86, v3
	;; [unrolled: 1-line block ×4, first 2 shown]
	v_fma_f16 v28, v83, v1, -v103
	v_fmac_f16_e32 v104, v88, v4
	v_fmac_f16_e32 v99, v91, v6
	;; [unrolled: 1-line block ×5, first 2 shown]
	v_sub_f16_e32 v29, v55, v29
	v_sub_f16_e32 v32, v28, v32
	;; [unrolled: 1-line block ×12, first 2 shown]
	v_fma_f16 v55, v55, 2.0, -v29
	v_fma_f16 v28, v28, 2.0, -v32
	v_fma_f16 v91, v102, 2.0, -v83
	v_sub_f16_e32 v83, v29, v83
	v_add_f16_e32 v32, v86, v32
	v_fma_f16 v92, v93, 2.0, -v86
	v_fma_f16 v33, v33, 2.0, -v53
	v_add_f16_e32 v53, v88, v53
	v_fma_f16 v56, v56, 2.0, -v30
	v_fma_f16 v93, v104, 2.0, -v87
	v_sub_f16_e32 v87, v30, v87
	v_fma_f16 v94, v94, 2.0, -v88
	v_fma_f16 v34, v34, 2.0, -v54
	;; [unrolled: 1-line block ×3, first 2 shown]
	v_sub_f16_e32 v89, v31, v89
	v_add_f16_e32 v54, v90, v54
	v_fma_f16 v82, v82, 2.0, -v31
	v_fma_f16 v96, v96, 2.0, -v90
	v_fma_f16 v29, v29, 2.0, -v83
	v_pack_b32_f16 v83, v83, v32
	v_fma_f16 v32, v86, 2.0, -v32
	v_fma_f16 v86, v88, 2.0, -v53
	v_sub_f16_e32 v28, v55, v28
	v_sub_f16_e32 v88, v92, v91
	v_fma_f16 v30, v30, 2.0, -v87
	v_pack_b32_f16 v53, v87, v53
	v_fma_f16 v31, v31, 2.0, -v89
	v_fma_f16 v87, v90, 2.0, -v54
	v_pack_b32_f16 v54, v89, v54
	v_sub_f16_e32 v33, v56, v33
	v_sub_f16_e32 v89, v94, v93
	;; [unrolled: 1-line block ×4, first 2 shown]
	v_fma_f16 v55, v55, 2.0, -v28
	v_pack_b32_f16 v28, v28, v88
	v_fma_f16 v88, v92, 2.0, -v88
	v_pack_b32_f16 v29, v29, v32
	v_fma_f16 v32, v56, 2.0, -v33
	v_fma_f16 v56, v94, 2.0, -v89
	v_pack_b32_f16 v30, v30, v86
	v_fma_f16 v82, v82, 2.0, -v34
	v_fma_f16 v86, v96, 2.0, -v90
	v_pack_b32_f16 v55, v55, v88
	v_pack_b32_f16 v32, v32, v56
	;; [unrolled: 1-line block ×6, first 2 shown]
	ds_write2_b32 v74, v28, v83 offset0:64 offset1:160
	ds_write2_b32 v69, v55, v29 offset1:96
	ds_write2_b32 v68, v32, v30 offset1:96
	ds_write2_b32 v73, v33, v53 offset0:64 offset1:160
	ds_write2_b32 v67, v56, v31 offset1:96
	ds_write2_b32 v72, v34, v54 offset0:64 offset1:160
	v_add_co_u32 v31, vcc_lo, 0x800, v35
	v_add_co_ci_u32_e32 v32, vcc_lo, 0, v36, vcc_lo
	s_waitcnt lgkmcnt(0)
	s_barrier
	buffer_gl0_inv
	s_clause 0x2
	global_load_dwordx3 v[28:30], v[35:36], off offset:1512
	global_load_dwordx3 v[34:36], v[84:85], off offset:1512
	global_load_dwordx3 v[31:33], v[31:32], off offset:1000
	ds_read2st64_b32 v[53:54], v40 offset0:8 offset1:12
	ds_read2st64_b32 v[55:56], v40 offset0:24 offset1:28
	;; [unrolled: 1-line block ×3, first 2 shown]
	v_cmp_lt_u64_e32 vcc_lo, 0x17f, v[38:39]
	ds_read2st64_b32 v[38:39], v40 offset0:16 offset1:20
	ds_read2st64_b32 v[84:85], v40 offset0:40 offset1:44
	ds_read2st64_b32 v[88:89], v40 offset1:4
	v_add_co_u32 v90, s0, s2, v40
	v_add_co_ci_u32_e64 v91, null, s3, 0, s0
	v_cndmask_b32_e64 v86, 0, 0x600, vcc_lo
	s_waitcnt vmcnt(0) lgkmcnt(0)
	s_barrier
	buffer_gl0_inv
	s_load_dwordx2 s[0:1], s[4:5], 0x38
	v_or_b32_e32 v78, v86, v78
	v_add_co_u32 v86, vcc_lo, 0x1000, v90
	v_add_co_ci_u32_e32 v87, vcc_lo, 0, v91, vcc_lo
	v_lshrrev_b32_e32 v92, 16, v54
	v_lshrrev_b32_e32 v93, 16, v55
	;; [unrolled: 1-line block ×8, first 2 shown]
	v_lshlrev_b32_e32 v78, 2, v78
	v_mul_f16_sdwa v101, v93, v29 dst_sel:DWORD dst_unused:UNUSED_PAD src0_sel:DWORD src1_sel:WORD_1
	v_mul_f16_sdwa v100, v55, v29 dst_sel:DWORD dst_unused:UNUSED_PAD src0_sel:DWORD src1_sel:WORD_1
	;; [unrolled: 1-line block ×5, first 2 shown]
	v_fma_f16 v101, v55, v29, -v101
	v_mul_f16_sdwa v55, v99, v32 dst_sel:DWORD dst_unused:UNUSED_PAD src0_sel:DWORD src1_sel:WORD_1
	v_fmac_f16_e32 v100, v93, v29
	v_mul_f16_sdwa v93, v54, v28 dst_sel:DWORD dst_unused:UNUSED_PAD src0_sel:DWORD src1_sel:WORD_1
	v_mul_f16_sdwa v107, v38, v34 dst_sel:DWORD dst_unused:UNUSED_PAD src0_sel:DWORD src1_sel:WORD_1
	v_fma_f16 v38, v38, v34, -v105
	v_fma_f16 v105, v39, v31, -v106
	v_mul_f16_sdwa v106, v83, v30 dst_sel:DWORD dst_unused:UNUSED_PAD src0_sel:DWORD src1_sel:WORD_1
	v_mul_f16_sdwa v103, v95, v35 dst_sel:DWORD dst_unused:UNUSED_PAD src0_sel:DWORD src1_sel:WORD_1
	;; [unrolled: 1-line block ×3, first 2 shown]
	v_fma_f16 v83, v83, v30, -v102
	v_fma_f16 v102, v82, v32, -v55
	v_mul_f16_sdwa v108, v82, v32 dst_sel:DWORD dst_unused:UNUSED_PAD src0_sel:DWORD src1_sel:WORD_1
	v_lshrrev_b32_e32 v82, 16, v85
	v_fmac_f16_e32 v93, v92, v28
	v_mul_f16_sdwa v92, v92, v28 dst_sel:DWORD dst_unused:UNUSED_PAD src0_sel:DWORD src1_sel:WORD_1
	v_fmac_f16_e32 v106, v94, v30
	v_mul_f16_sdwa v94, v84, v36 dst_sel:DWORD dst_unused:UNUSED_PAD src0_sel:DWORD src1_sel:WORD_1
	v_mul_f16_sdwa v55, v97, v36 dst_sel:DWORD dst_unused:UNUSED_PAD src0_sel:DWORD src1_sel:WORD_1
	v_fma_f16 v103, v56, v35, -v103
	v_mul_f16_sdwa v39, v39, v31 dst_sel:DWORD dst_unused:UNUSED_PAD src0_sel:DWORD src1_sel:WORD_1
	v_fmac_f16_e32 v104, v95, v35
	v_mul_f16_sdwa v56, v82, v33 dst_sel:DWORD dst_unused:UNUSED_PAD src0_sel:DWORD src1_sel:WORD_1
	v_mul_f16_sdwa v95, v85, v33 dst_sel:DWORD dst_unused:UNUSED_PAD src0_sel:DWORD src1_sel:WORD_1
	v_fmac_f16_e32 v107, v96, v34
	v_lshrrev_b32_e32 v96, 16, v88
	v_fma_f16 v54, v54, v28, -v92
	v_fmac_f16_e32 v94, v97, v36
	v_fma_f16 v84, v84, v36, -v55
	v_lshrrev_b32_e32 v92, 16, v89
	v_fma_f16 v85, v85, v33, -v56
	v_fmac_f16_e32 v39, v98, v31
	v_fmac_f16_e32 v108, v99, v32
	;; [unrolled: 1-line block ×3, first 2 shown]
	v_sub_f16_e32 v98, v88, v101
	v_lshrrev_b32_e32 v101, 16, v53
	v_sub_f16_e32 v82, v96, v100
	v_sub_f16_e32 v83, v54, v83
	;; [unrolled: 1-line block ×11, first 2 shown]
	v_fma_f16 v54, v54, 2.0, -v83
	v_fma_f16 v93, v93, 2.0, -v97
	;; [unrolled: 1-line block ×8, first 2 shown]
	v_sub_f16_e32 v97, v98, v97
	v_add_f16_e32 v83, v82, v83
	v_fma_f16 v53, v53, 2.0, -v100
	v_sub_f16_e32 v94, v99, v94
	v_add_f16_e32 v84, v103, v84
	v_fma_f16 v105, v105, 2.0, -v85
	v_fma_f16 v39, v39, 2.0, -v95
	v_sub_f16_e32 v95, v100, v95
	v_add_f16_e32 v85, v104, v85
	v_fma_f16 v101, v101, 2.0, -v104
	v_sub_f16_e32 v54, v88, v54
	v_sub_f16_e32 v93, v96, v93
	;; [unrolled: 1-line block ×4, first 2 shown]
	v_pack_b32_f16 v102, v97, v83
	v_fma_f16 v97, v98, 2.0, -v97
	v_fma_f16 v98, v82, 2.0, -v83
	;; [unrolled: 1-line block ×4, first 2 shown]
	v_pack_b32_f16 v84, v94, v84
	v_fma_f16 v94, v100, 2.0, -v95
	v_fma_f16 v100, v104, 2.0, -v85
	v_pack_b32_f16 v85, v95, v85
	v_sub_f16_e32 v95, v53, v105
	v_sub_f16_e32 v39, v101, v39
	v_pack_b32_f16 v104, v54, v93
	v_fma_f16 v54, v88, 2.0, -v54
	v_fma_f16 v88, v96, 2.0, -v93
	;; [unrolled: 1-line block ×4, first 2 shown]
	v_add_co_u32 v55, vcc_lo, 0x1800, v90
	v_pack_b32_f16 v93, v97, v98
	v_fma_f16 v53, v53, 2.0, -v95
	v_fma_f16 v97, v101, 2.0, -v39
	v_add_co_ci_u32_e32 v56, vcc_lo, 0, v91, vcc_lo
	v_pack_b32_f16 v54, v54, v88
	v_pack_b32_f16 v96, v99, v103
	;; [unrolled: 1-line block ×3, first 2 shown]
	v_add_co_u32 v82, vcc_lo, 0x2000, v90
	v_pack_b32_f16 v38, v38, v106
	v_pack_b32_f16 v94, v94, v100
	;; [unrolled: 1-line block ×4, first 2 shown]
	v_add_co_ci_u32_e32 v83, vcc_lo, 0, v91, vcc_lo
	ds_write2st64_b32 v40, v104, v102 offset0:12 offset1:18
	ds_write2st64_b32 v40, v54, v93 offset1:6
	ds_write2st64_b32 v78, v88, v96 offset1:6
	ds_write2st64_b32 v78, v38, v84 offset0:12 offset1:18
	ds_write2st64_b32 v40, v53, v94 offset0:26 offset1:32
	;; [unrolled: 1-line block ×3, first 2 shown]
	s_waitcnt lgkmcnt(0)
	s_barrier
	buffer_gl0_inv
	s_clause 0x1
	global_load_dword v38, v[86:87], off offset:2024
	global_load_dword v39, v[55:56], off offset:1000
	v_add_co_u32 v84, vcc_lo, 0x2800, v90
	v_add_co_ci_u32_e32 v85, vcc_lo, 0, v91, vcc_lo
	s_clause 0x3
	global_load_dword v53, v[55:56], off offset:2024
	global_load_dword v54, v[82:83], off offset:1000
	;; [unrolled: 1-line block ×4, first 2 shown]
	ds_read2st64_b32 v[82:83], v40 offset0:24 offset1:28
	ds_read2st64_b32 v[84:85], v40 offset0:32 offset1:36
	;; [unrolled: 1-line block ×3, first 2 shown]
	ds_read2st64_b32 v[88:89], v40 offset1:4
	ds_read2st64_b32 v[90:91], v40 offset0:8 offset1:12
	ds_read2st64_b32 v[92:93], v40 offset0:16 offset1:20
	s_waitcnt lgkmcnt(5)
	v_lshrrev_b32_e32 v94, 16, v82
	v_lshrrev_b32_e32 v95, 16, v83
	s_waitcnt lgkmcnt(4)
	v_lshrrev_b32_e32 v96, 16, v84
	v_lshrrev_b32_e32 v97, 16, v85
	;; [unrolled: 3-line block ×3, first 2 shown]
	s_waitcnt vmcnt(5)
	v_mul_f16_sdwa v100, v94, v38 dst_sel:DWORD dst_unused:UNUSED_PAD src0_sel:DWORD src1_sel:WORD_1
	s_waitcnt vmcnt(4)
	v_mul_f16_sdwa v101, v95, v39 dst_sel:DWORD dst_unused:UNUSED_PAD src0_sel:DWORD src1_sel:WORD_1
	v_mul_f16_sdwa v102, v82, v38 dst_sel:DWORD dst_unused:UNUSED_PAD src0_sel:DWORD src1_sel:WORD_1
	s_waitcnt vmcnt(3)
	v_mul_f16_sdwa v104, v96, v53 dst_sel:DWORD dst_unused:UNUSED_PAD src0_sel:DWORD src1_sel:WORD_1
	s_waitcnt vmcnt(2)
	v_mul_f16_sdwa v105, v97, v54 dst_sel:DWORD dst_unused:UNUSED_PAD src0_sel:DWORD src1_sel:WORD_1
	v_mul_f16_sdwa v103, v83, v39 dst_sel:DWORD dst_unused:UNUSED_PAD src0_sel:DWORD src1_sel:WORD_1
	v_fma_f16 v82, v82, v38, -v100
	v_fma_f16 v83, v83, v39, -v101
	s_waitcnt vmcnt(1)
	v_mul_f16_sdwa v100, v98, v55 dst_sel:DWORD dst_unused:UNUSED_PAD src0_sel:DWORD src1_sel:WORD_1
	s_waitcnt vmcnt(0)
	v_mul_f16_sdwa v101, v99, v56 dst_sel:DWORD dst_unused:UNUSED_PAD src0_sel:DWORD src1_sel:WORD_1
	v_mul_f16_sdwa v106, v84, v53 dst_sel:DWORD dst_unused:UNUSED_PAD src0_sel:DWORD src1_sel:WORD_1
	v_fma_f16 v84, v84, v53, -v104
	v_fma_f16 v104, v85, v54, -v105
	v_mul_f16_sdwa v85, v85, v54 dst_sel:DWORD dst_unused:UNUSED_PAD src0_sel:DWORD src1_sel:WORD_1
	v_mul_f16_sdwa v105, v86, v55 dst_sel:DWORD dst_unused:UNUSED_PAD src0_sel:DWORD src1_sel:WORD_1
	v_fma_f16 v86, v86, v55, -v100
	v_fma_f16 v100, v87, v56, -v101
	v_mul_f16_sdwa v87, v87, v56 dst_sel:DWORD dst_unused:UNUSED_PAD src0_sel:DWORD src1_sel:WORD_1
	s_waitcnt lgkmcnt(2)
	v_lshrrev_b32_e32 v101, 16, v88
	v_fmac_f16_e32 v102, v94, v38
	v_lshrrev_b32_e32 v94, 16, v89
	v_fmac_f16_e32 v103, v95, v39
	s_waitcnt lgkmcnt(1)
	v_lshrrev_b32_e32 v95, 16, v90
	v_fmac_f16_e32 v106, v96, v53
	v_lshrrev_b32_e32 v96, 16, v91
	v_fmac_f16_e32 v85, v97, v54
	s_waitcnt lgkmcnt(0)
	v_lshrrev_b32_e32 v97, 16, v92
	v_fmac_f16_e32 v105, v98, v55
	v_lshrrev_b32_e32 v98, 16, v93
	v_fmac_f16_e32 v87, v99, v56
	v_sub_f16_e32 v82, v88, v82
	v_sub_f16_e32 v83, v89, v83
	;; [unrolled: 1-line block ×12, first 2 shown]
	v_fma_f16 v88, v88, 2.0, -v82
	v_fma_f16 v89, v89, 2.0, -v83
	v_pack_b32_f16 v82, v82, v99
	v_pack_b32_f16 v83, v83, v102
	v_fma_f16 v99, v101, 2.0, -v99
	v_fma_f16 v94, v94, 2.0, -v102
	v_fma_f16 v90, v90, 2.0, -v84
	v_fma_f16 v91, v91, 2.0, -v103
	v_pack_b32_f16 v103, v103, v85
	v_fma_f16 v95, v95, 2.0, -v104
	v_fma_f16 v85, v96, 2.0, -v85
	v_fma_f16 v92, v92, 2.0, -v86
	v_fma_f16 v93, v93, 2.0, -v100
	v_pack_b32_f16 v100, v100, v87
	v_fma_f16 v96, v97, 2.0, -v105
	v_fma_f16 v87, v98, 2.0, -v87
	v_pack_b32_f16 v84, v84, v104
	v_pack_b32_f16 v86, v86, v105
	ds_write2st64_b32 v40, v82, v83 offset0:24 offset1:28
	v_pack_b32_f16 v82, v88, v99
	v_pack_b32_f16 v83, v89, v94
	;; [unrolled: 1-line block ×6, first 2 shown]
	ds_write2st64_b32 v40, v84, v103 offset0:32 offset1:36
	ds_write2st64_b32 v40, v86, v100 offset0:40 offset1:44
	ds_write2st64_b32 v40, v82, v83 offset1:4
	ds_write2st64_b32 v40, v88, v85 offset0:8 offset1:12
	ds_write2st64_b32 v40, v89, v87 offset0:16 offset1:20
	s_waitcnt lgkmcnt(0)
	s_barrier
	buffer_gl0_inv
	s_clause 0xb
	global_load_dword v84, v40, s[6:7]
	global_load_dword v85, v40, s[6:7] offset:1024
	global_load_dword v86, v60, s[6:7]
	global_load_dword v87, v63, s[6:7]
	;; [unrolled: 1-line block ×10, first 2 shown]
	ds_read2st64_b32 v[57:58], v40 offset1:4
	ds_read2st64_b32 v[59:60], v40 offset0:8 offset1:12
	ds_read2st64_b32 v[61:62], v40 offset0:16 offset1:20
	;; [unrolled: 1-line block ×5, first 2 shown]
	s_waitcnt lgkmcnt(5)
	v_lshrrev_b32_e32 v96, 16, v57
	v_lshrrev_b32_e32 v97, 16, v58
	s_waitcnt lgkmcnt(4)
	v_lshrrev_b32_e32 v99, 16, v60
	v_lshrrev_b32_e32 v98, 16, v59
	;; [unrolled: 3-line block ×4, first 2 shown]
	s_waitcnt vmcnt(11)
	v_mul_f16_sdwa v102, v57, v84 dst_sel:DWORD dst_unused:UNUSED_PAD src0_sel:DWORD src1_sel:WORD_1
	v_mul_f16_sdwa v104, v96, v84 dst_sel:DWORD dst_unused:UNUSED_PAD src0_sel:DWORD src1_sel:WORD_1
	s_waitcnt vmcnt(10)
	v_mul_f16_sdwa v106, v97, v85 dst_sel:DWORD dst_unused:UNUSED_PAD src0_sel:DWORD src1_sel:WORD_1
	v_fmac_f16_e32 v102, v96, v84
	v_mul_f16_sdwa v96, v58, v85 dst_sel:DWORD dst_unused:UNUSED_PAD src0_sel:DWORD src1_sel:WORD_1
	v_fma_f16 v57, v57, v84, -v104
	s_waitcnt vmcnt(9)
	v_mul_f16_sdwa v104, v59, v86 dst_sel:DWORD dst_unused:UNUSED_PAD src0_sel:DWORD src1_sel:WORD_1
	v_fma_f16 v58, v58, v85, -v106
	v_mul_f16_sdwa v106, v98, v86 dst_sel:DWORD dst_unused:UNUSED_PAD src0_sel:DWORD src1_sel:WORD_1
	v_fmac_f16_e32 v96, v97, v85
	s_waitcnt vmcnt(8)
	v_mul_f16_sdwa v97, v99, v87 dst_sel:DWORD dst_unused:UNUSED_PAD src0_sel:DWORD src1_sel:WORD_1
	v_fmac_f16_e32 v104, v98, v86
	v_mul_f16_sdwa v98, v60, v87 dst_sel:DWORD dst_unused:UNUSED_PAD src0_sel:DWORD src1_sel:WORD_1
	v_fma_f16 v59, v59, v86, -v106
	s_waitcnt vmcnt(7)
	v_mul_f16_sdwa v106, v100, v88 dst_sel:DWORD dst_unused:UNUSED_PAD src0_sel:DWORD src1_sel:WORD_1
	v_fma_f16 v60, v60, v87, -v97
	v_mul_f16_sdwa v97, v61, v88 dst_sel:DWORD dst_unused:UNUSED_PAD src0_sel:DWORD src1_sel:WORD_1
	v_fmac_f16_e32 v98, v99, v87
	s_waitcnt vmcnt(6)
	v_mul_f16_sdwa v99, v101, v89 dst_sel:DWORD dst_unused:UNUSED_PAD src0_sel:DWORD src1_sel:WORD_1
	s_waitcnt lgkmcnt(1)
	v_lshrrev_b32_e32 v84, 16, v65
	v_lshrrev_b32_e32 v85, 16, v66
	v_fmac_f16_e32 v97, v100, v88
	v_mul_f16_sdwa v100, v62, v89 dst_sel:DWORD dst_unused:UNUSED_PAD src0_sel:DWORD src1_sel:WORD_1
	s_waitcnt lgkmcnt(0)
	v_lshrrev_b32_e32 v86, 16, v82
	v_lshrrev_b32_e32 v87, 16, v83
	v_fma_f16 v61, v61, v88, -v106
	s_waitcnt vmcnt(5)
	v_mul_f16_sdwa v88, v63, v90 dst_sel:DWORD dst_unused:UNUSED_PAD src0_sel:DWORD src1_sel:WORD_1
	v_fma_f16 v62, v62, v89, -v99
	v_mul_f16_sdwa v99, v103, v90 dst_sel:DWORD dst_unused:UNUSED_PAD src0_sel:DWORD src1_sel:WORD_1
	s_waitcnt vmcnt(4)
	v_mul_f16_sdwa v106, v105, v91 dst_sel:DWORD dst_unused:UNUSED_PAD src0_sel:DWORD src1_sel:WORD_1
	v_fmac_f16_e32 v100, v101, v89
	v_mul_f16_sdwa v89, v64, v91 dst_sel:DWORD dst_unused:UNUSED_PAD src0_sel:DWORD src1_sel:WORD_1
	s_waitcnt vmcnt(3)
	v_mul_f16_sdwa v101, v65, v92 dst_sel:DWORD dst_unused:UNUSED_PAD src0_sel:DWORD src1_sel:WORD_1
	v_fmac_f16_e32 v88, v103, v90
	v_mul_f16_sdwa v103, v84, v92 dst_sel:DWORD dst_unused:UNUSED_PAD src0_sel:DWORD src1_sel:WORD_1
	v_fma_f16 v63, v63, v90, -v99
	s_waitcnt vmcnt(2)
	v_mul_f16_sdwa v90, v85, v93 dst_sel:DWORD dst_unused:UNUSED_PAD src0_sel:DWORD src1_sel:WORD_1
	v_fma_f16 v64, v64, v91, -v106
	v_mul_f16_sdwa v99, v66, v93 dst_sel:DWORD dst_unused:UNUSED_PAD src0_sel:DWORD src1_sel:WORD_1
	s_waitcnt vmcnt(1)
	v_mul_f16_sdwa v106, v82, v94 dst_sel:DWORD dst_unused:UNUSED_PAD src0_sel:DWORD src1_sel:WORD_1
	v_fmac_f16_e32 v89, v105, v91
	v_mul_f16_sdwa v91, v86, v94 dst_sel:DWORD dst_unused:UNUSED_PAD src0_sel:DWORD src1_sel:WORD_1
	s_waitcnt vmcnt(0)
	v_mul_f16_sdwa v105, v87, v95 dst_sel:DWORD dst_unused:UNUSED_PAD src0_sel:DWORD src1_sel:WORD_1
	v_fmac_f16_e32 v101, v84, v92
	v_mul_f16_sdwa v84, v83, v95 dst_sel:DWORD dst_unused:UNUSED_PAD src0_sel:DWORD src1_sel:WORD_1
	v_fma_f16 v65, v65, v92, -v103
	v_fma_f16 v66, v66, v93, -v90
	v_fmac_f16_e32 v99, v85, v93
	v_fmac_f16_e32 v106, v86, v94
	v_fma_f16 v82, v82, v94, -v91
	v_fma_f16 v83, v83, v95, -v105
	v_fmac_f16_e32 v84, v87, v95
	v_pack_b32_f16 v57, v57, v102
	v_pack_b32_f16 v58, v58, v96
	;; [unrolled: 1-line block ×12, first 2 shown]
	ds_write2st64_b32 v40, v57, v58 offset1:4
	ds_write2st64_b32 v40, v59, v60 offset0:8 offset1:12
	ds_write2st64_b32 v40, v61, v62 offset0:16 offset1:20
	ds_write2st64_b32 v40, v63, v64 offset0:24 offset1:28
	ds_write2st64_b32 v40, v65, v66 offset0:32 offset1:36
	ds_write2st64_b32 v40, v82, v83 offset0:40 offset1:44
	s_waitcnt lgkmcnt(0)
	s_barrier
	buffer_gl0_inv
	ds_read2st64_b32 v[57:58], v40 offset0:16 offset1:20
	ds_read2st64_b32 v[59:60], v40 offset0:32 offset1:36
	ds_read2st64_b32 v[61:62], v40 offset1:4
	ds_read2st64_b32 v[63:64], v40 offset0:24 offset1:28
	ds_read2st64_b32 v[65:66], v40 offset0:40 offset1:44
	;; [unrolled: 1-line block ×3, first 2 shown]
	s_waitcnt lgkmcnt(0)
	s_barrier
	buffer_gl0_inv
	v_pk_add_f16 v84, v57, v59
	v_pk_add_f16 v85, v57, v59 neg_lo:[0,1] neg_hi:[0,1]
	v_pk_add_f16 v57, v61, v57
	v_pk_add_f16 v88, v63, v65
	;; [unrolled: 1-line block ×7, first 2 shown]
	v_pk_add_f16 v63, v63, v65 neg_lo:[0,1] neg_hi:[0,1]
	v_pk_add_f16 v57, v57, v59
	v_pk_fma_f16 v59, v84, 0.5, v61 op_sel_hi:[1,0,1] neg_lo:[1,0,0] neg_hi:[1,0,0]
	v_pk_fma_f16 v61, v88, 0.5, v82 op_sel_hi:[1,0,1] neg_lo:[1,0,0] neg_hi:[1,0,0]
	v_pk_add_f16 v64, v64, v66 neg_lo:[0,1] neg_hi:[0,1]
	v_pk_fma_f16 v82, v89, 0.5, v83 op_sel_hi:[1,0,1] neg_lo:[1,0,0] neg_hi:[1,0,0]
	v_pk_add_f16 v58, v58, v60 neg_lo:[0,1] neg_hi:[0,1]
	v_pk_add_f16 v60, v86, v60
	v_pk_fma_f16 v62, v87, 0.5, v62 op_sel_hi:[1,0,1] neg_lo:[1,0,0] neg_hi:[1,0,0]
	v_pk_add_f16 v65, v90, v65
	v_pk_add_f16 v66, v91, v66
	v_pk_fma_f16 v83, 0x3aee, v63, v61 op_sel:[0,0,1] op_sel_hi:[0,1,0] neg_lo:[0,1,0] neg_hi:[0,1,0]
	v_pk_fma_f16 v61, 0x3aee, v63, v61 op_sel:[0,0,1] op_sel_hi:[0,1,0]
	v_pk_fma_f16 v86, 0x3aee, v64, v82 op_sel:[0,0,1] op_sel_hi:[0,1,0] neg_lo:[0,1,0] neg_hi:[0,1,0]
	v_pk_fma_f16 v64, 0x3aee, v64, v82 op_sel:[0,0,1] op_sel_hi:[0,1,0]
	;; [unrolled: 2-line block ×4, first 2 shown]
	v_pk_add_f16 v58, v57, v65 neg_lo:[0,1] neg_hi:[0,1]
	v_pk_add_f16 v59, v57, v65
	v_pk_add_f16 v62, v60, v66 neg_lo:[0,1] neg_hi:[0,1]
	v_pk_add_f16 v63, v60, v66
	v_lshrrev_b32_e32 v57, 16, v83
	v_mul_f16_e32 v60, 0xbaee, v61
	v_pk_mul_f16 v65, 0x3aee, v83 op_sel_hi:[0,1]
	v_lshrrev_b32_e32 v90, 16, v86
	v_pk_mul_f16 v92, 0x3aee, v86 op_sel_hi:[0,1]
	v_lshrrev_b32_e32 v93, 16, v64
	v_mul_f16_e32 v86, -0.5, v86
	v_lshrrev_b32_e32 v66, 16, v61
	v_mul_f16_e32 v83, -0.5, v83
	v_fmac_f16_e32 v60, 0.5, v57
	v_pk_fma_f16 v57, 0xb8003800, v61, v65 op_sel:[0,0,1] op_sel_hi:[1,1,0]
	v_pk_fma_f16 v61, 0xb8003800, v61, v65 op_sel:[0,0,1] op_sel_hi:[1,1,0] neg_lo:[0,0,1] neg_hi:[0,0,1]
	v_mul_f16_e32 v91, 0xbaee, v64
	v_pk_fma_f16 v65, 0xb8003800, v64, v92 op_sel:[0,0,1] op_sel_hi:[1,1,0]
	v_pk_fma_f16 v64, 0xb8003800, v64, v92 op_sel:[0,0,1] op_sel_hi:[1,1,0] neg_lo:[0,0,1] neg_hi:[0,0,1]
	v_fmac_f16_e32 v86, 0x3aee, v93
	v_fmac_f16_e32 v83, 0x3aee, v66
	v_pack_b32_f16 v66, v60, v57
	v_bfi_b32 v57, 0xffff, v57, v61
	v_fmac_f16_e32 v91, 0.5, v90
	v_alignbit_b32 v95, v86, v64, 16
	v_bfi_b32 v64, 0xffff, v65, v64
	v_alignbit_b32 v88, v85, v84, 16
	v_alignbit_b32 v89, v84, v85, 16
	;; [unrolled: 1-line block ×3, first 2 shown]
	v_add_f16_e32 v61, v84, v83
	v_add_f16_sdwa v60, v84, v60 dst_sel:DWORD dst_unused:UNUSED_PAD src0_sel:WORD_1 src1_sel:DWORD
	v_pk_add_f16 v85, v85, v57
	v_add_f16_e32 v83, v82, v86
	v_add_f16_sdwa v84, v82, v91 dst_sel:DWORD dst_unused:UNUSED_PAD src0_sel:WORD_1 src1_sel:DWORD
	v_pk_add_f16 v64, v87, v64
	v_alignbit_b32 v94, v87, v82, 16
	v_alignbit_b32 v90, v82, v87, 16
	v_pack_b32_f16 v93, v91, v65
	v_pk_add_f16 v65, v88, v66 neg_lo:[0,1] neg_hi:[0,1]
	v_pk_add_f16 v66, v89, v92 neg_lo:[0,1] neg_hi:[0,1]
	v_alignbit_b32 v57, v61, v85, 16
	v_pack_b32_f16 v60, v60, v85
	v_alignbit_b32 v61, v83, v64, 16
	v_pack_b32_f16 v64, v84, v64
	v_pk_add_f16 v82, v94, v93 neg_lo:[0,1] neg_hi:[0,1]
	v_pk_add_f16 v83, v90, v95 neg_lo:[0,1] neg_hi:[0,1]
	ds_write_b64 v71, v[65:66] offset:16
	ds_write2_b64 v71, v[59:60], v[57:58] offset1:1
	ds_write2_b64 v70, v[63:64], v[61:62] offset1:1
	ds_write_b64 v70, v[82:83] offset:16
	s_waitcnt lgkmcnt(0)
	s_barrier
	buffer_gl0_inv
	ds_read2st64_b32 v[57:58], v40 offset0:16 offset1:20
	ds_read2st64_b32 v[59:60], v40 offset0:24 offset1:28
	;; [unrolled: 1-line block ×5, first 2 shown]
	ds_read2st64_b32 v[70:71], v40 offset1:4
	s_waitcnt lgkmcnt(0)
	s_barrier
	buffer_gl0_inv
	v_lshrrev_b32_e32 v88, 16, v58
	v_mul_f16_sdwa v90, v16, v58 dst_sel:DWORD dst_unused:UNUSED_PAD src0_sel:WORD_1 src1_sel:DWORD
	v_lshrrev_b32_e32 v86, 16, v61
	v_mul_f16_sdwa v87, v15, v61 dst_sel:DWORD dst_unused:UNUSED_PAD src0_sel:WORD_1 src1_sel:DWORD
	;; [unrolled: 2-line block ×4, first 2 shown]
	v_lshrrev_b32_e32 v94, 16, v59
	v_lshrrev_b32_e32 v95, 16, v64
	v_mul_f16_sdwa v97, v12, v64 dst_sel:DWORD dst_unused:UNUSED_PAD src0_sel:WORD_1 src1_sel:DWORD
	v_lshrrev_b32_e32 v98, 16, v66
	v_lshrrev_b32_e32 v82, 16, v57
	v_mul_f16_sdwa v83, v13, v57 dst_sel:DWORD dst_unused:UNUSED_PAD src0_sel:WORD_1 src1_sel:DWORD
	v_lshrrev_b32_e32 v84, 16, v60
	v_mul_f16_sdwa v85, v14, v60 dst_sel:DWORD dst_unused:UNUSED_PAD src0_sel:WORD_1 src1_sel:DWORD
	v_mul_f16_sdwa v96, v11, v59 dst_sel:DWORD dst_unused:UNUSED_PAD src0_sel:WORD_1 src1_sel:DWORD
	;; [unrolled: 1-line block ×4, first 2 shown]
	v_fma_f16 v86, v15, v86, -v87
	v_mul_f16_sdwa v87, v16, v88 dst_sel:DWORD dst_unused:UNUSED_PAD src0_sel:WORD_1 src1_sel:DWORD
	v_mul_f16_sdwa v104, v18, v89 dst_sel:DWORD dst_unused:UNUSED_PAD src0_sel:WORD_1 src1_sel:DWORD
	v_fma_f16 v88, v16, v88, -v90
	v_fma_f16 v89, v18, v89, -v91
	v_mul_f16_sdwa v90, v17, v92 dst_sel:DWORD dst_unused:UNUSED_PAD src0_sel:WORD_1 src1_sel:DWORD
	v_fma_f16 v91, v17, v92, -v93
	v_mul_f16_sdwa v92, v11, v94 dst_sel:DWORD dst_unused:UNUSED_PAD src0_sel:WORD_1 src1_sel:DWORD
	v_mul_f16_sdwa v93, v12, v95 dst_sel:DWORD dst_unused:UNUSED_PAD src0_sel:WORD_1 src1_sel:DWORD
	v_fma_f16 v95, v12, v95, -v97
	v_mul_f16_sdwa v97, v10, v98 dst_sel:DWORD dst_unused:UNUSED_PAD src0_sel:WORD_1 src1_sel:DWORD
	v_fma_f16 v83, v13, v82, -v83
	;; [unrolled: 2-line block ×3, first 2 shown]
	v_mul_f16_sdwa v84, v14, v84 dst_sel:DWORD dst_unused:UNUSED_PAD src0_sel:WORD_1 src1_sel:DWORD
	v_lshrrev_b32_e32 v100, 16, v70
	v_fma_f16 v94, v11, v94, -v96
	v_fma_f16 v96, v10, v98, -v99
	v_fmac_f16_e32 v92, v11, v59
	v_fmac_f16_e32 v93, v12, v64
	;; [unrolled: 1-line block ×3, first 2 shown]
	v_lshrrev_b32_e32 v101, 16, v71
	v_fmac_f16_e32 v82, v13, v57
	v_fmac_f16_e32 v84, v14, v60
	;; [unrolled: 1-line block ×3, first 2 shown]
	v_lshrrev_b32_e32 v102, 16, v65
	v_fmac_f16_e32 v87, v16, v58
	v_fmac_f16_e32 v104, v18, v62
	;; [unrolled: 1-line block ×3, first 2 shown]
	v_sub_f16_e32 v10, v96, v95
	v_sub_f16_e32 v11, v100, v94
	;; [unrolled: 1-line block ×12, first 2 shown]
	v_fma_f16 v58, v96, 2.0, -v10
	v_fma_f16 v59, v100, 2.0, -v11
	;; [unrolled: 1-line block ×5, first 2 shown]
	v_add_f16_e32 v10, v16, v10
	v_sub_f16_e32 v57, v11, v57
	v_fma_f16 v62, v101, 2.0, -v13
	v_fma_f16 v71, v71, 2.0, -v17
	;; [unrolled: 1-line block ×6, first 2 shown]
	v_add_f16_e32 v12, v17, v12
	v_sub_f16_e32 v60, v13, v60
	v_fma_f16 v84, v87, 2.0, -v63
	v_sub_f16_e32 v58, v59, v58
	v_add_f16_e32 v14, v18, v14
	v_sub_f16_e32 v63, v15, v63
	v_fma_f16 v16, v16, 2.0, -v10
	v_pack_b32_f16 v10, v10, v57
	v_fma_f16 v11, v11, 2.0, -v57
	v_sub_f16_e32 v57, v70, v83
	v_sub_f16_e32 v61, v62, v61
	;; [unrolled: 1-line block ×4, first 2 shown]
	v_fma_f16 v17, v17, 2.0, -v12
	v_fma_f16 v13, v13, 2.0, -v60
	v_pack_b32_f16 v12, v12, v60
	v_sub_f16_e32 v60, v65, v84
	v_fma_f16 v59, v59, 2.0, -v58
	v_fma_f16 v18, v18, 2.0, -v14
	;; [unrolled: 1-line block ×3, first 2 shown]
	v_pack_b32_f16 v58, v57, v58
	v_fma_f16 v57, v70, 2.0, -v57
	v_fma_f16 v62, v62, 2.0, -v61
	v_pack_b32_f16 v11, v16, v11
	v_fma_f16 v16, v71, 2.0, -v82
	v_fma_f16 v66, v66, 2.0, -v64
	v_pack_b32_f16 v13, v17, v13
	v_pack_b32_f16 v17, v82, v61
	v_fma_f16 v61, v65, 2.0, -v60
	v_pack_b32_f16 v15, v18, v15
	v_pack_b32_f16 v18, v57, v59
	;; [unrolled: 1-line block ×6, first 2 shown]
	ds_write2_b32 v75, v58, v10 offset0:12 offset1:18
	ds_write2_b32 v75, v18, v11 offset1:6
	ds_write2_b32 v77, v16, v13 offset1:6
	ds_write2_b32 v77, v17, v12 offset0:12 offset1:18
	ds_write2_b32 v76, v59, v15 offset1:6
	ds_write2_b32 v76, v57, v14 offset0:12 offset1:18
	s_waitcnt lgkmcnt(0)
	s_barrier
	buffer_gl0_inv
	ds_read2st64_b32 v[10:11], v40 offset0:16 offset1:20
	ds_read2st64_b32 v[12:13], v40 offset0:24 offset1:28
	;; [unrolled: 1-line block ×5, first 2 shown]
	ds_read2st64_b32 v[59:60], v40 offset1:4
	s_waitcnt lgkmcnt(0)
	s_barrier
	buffer_gl0_inv
	v_lshrrev_b32_e32 v66, 16, v11
	v_mul_f16_sdwa v70, v25, v11 dst_sel:DWORD dst_unused:UNUSED_PAD src0_sel:WORD_1 src1_sel:DWORD
	v_lshrrev_b32_e32 v64, 16, v14
	v_mul_f16_sdwa v65, v24, v14 dst_sel:DWORD dst_unused:UNUSED_PAD src0_sel:WORD_1 src1_sel:DWORD
	;; [unrolled: 2-line block ×6, first 2 shown]
	v_lshrrev_b32_e32 v86, 16, v58
	v_lshrrev_b32_e32 v18, 16, v10
	v_mul_f16_sdwa v61, v22, v10 dst_sel:DWORD dst_unused:UNUSED_PAD src0_sel:WORD_1 src1_sel:DWORD
	v_lshrrev_b32_e32 v62, 16, v13
	v_mul_f16_sdwa v63, v23, v13 dst_sel:DWORD dst_unused:UNUSED_PAD src0_sel:WORD_1 src1_sel:DWORD
	v_mul_f16_sdwa v87, v19, v58 dst_sel:DWORD dst_unused:UNUSED_PAD src0_sel:WORD_1 src1_sel:DWORD
	;; [unrolled: 1-line block ×3, first 2 shown]
	v_fma_f16 v64, v24, v64, -v65
	v_mul_f16_sdwa v65, v25, v66 dst_sel:DWORD dst_unused:UNUSED_PAD src0_sel:WORD_1 src1_sel:DWORD
	v_mul_f16_sdwa v92, v27, v71 dst_sel:DWORD dst_unused:UNUSED_PAD src0_sel:WORD_1 src1_sel:DWORD
	v_fma_f16 v66, v25, v66, -v70
	v_fma_f16 v70, v27, v71, -v75
	;; [unrolled: 1-line block ×3, first 2 shown]
	v_mul_f16_sdwa v75, v26, v76 dst_sel:DWORD dst_unused:UNUSED_PAD src0_sel:WORD_1 src1_sel:DWORD
	v_mul_f16_sdwa v76, v20, v82 dst_sel:DWORD dst_unused:UNUSED_PAD src0_sel:WORD_1 src1_sel:DWORD
	v_fma_f16 v77, v20, v82, -v83
	v_mul_f16_sdwa v82, v21, v84 dst_sel:DWORD dst_unused:UNUSED_PAD src0_sel:WORD_1 src1_sel:DWORD
	v_fma_f16 v83, v21, v84, -v85
	;; [unrolled: 2-line block ×4, first 2 shown]
	v_mul_f16_sdwa v62, v23, v62 dst_sel:DWORD dst_unused:UNUSED_PAD src0_sel:WORD_1 src1_sel:DWORD
	v_lshrrev_b32_e32 v88, 16, v59
	v_lshrrev_b32_e32 v89, 16, v60
	v_fma_f16 v84, v19, v86, -v87
	v_fmac_f16_e32 v76, v20, v12
	v_fmac_f16_e32 v82, v21, v17
	;; [unrolled: 1-line block ×6, first 2 shown]
	v_lshrrev_b32_e32 v90, 16, v57
	v_fmac_f16_e32 v65, v25, v11
	v_fmac_f16_e32 v92, v27, v15
	v_fmac_f16_e32 v75, v26, v16
	v_sub_f16_e32 v10, v88, v77
	v_sub_f16_e32 v11, v84, v83
	;; [unrolled: 1-line block ×12, first 2 shown]
	v_fma_f16 v16, v88, 2.0, -v10
	v_fma_f16 v19, v84, 2.0, -v11
	;; [unrolled: 1-line block ×6, first 2 shown]
	v_add_f16_e32 v11, v20, v11
	v_sub_f16_e32 v17, v10, v17
	v_fma_f16 v60, v60, 2.0, -v21
	v_fma_f16 v18, v18, 2.0, -v23
	v_add_f16_e32 v12, v21, v12
	v_sub_f16_e32 v23, v13, v23
	v_fma_f16 v27, v66, 2.0, -v14
	v_fma_f16 v58, v90, 2.0, -v15
	;; [unrolled: 1-line block ×4, first 2 shown]
	v_add_f16_e32 v14, v22, v14
	v_sub_f16_e32 v19, v16, v19
	v_sub_f16_e32 v24, v25, v24
	;; [unrolled: 1-line block ×3, first 2 shown]
	v_pack_b32_f16 v63, v11, v17
	v_fma_f16 v11, v20, 2.0, -v11
	v_fma_f16 v10, v10, 2.0, -v17
	;; [unrolled: 1-line block ×4, first 2 shown]
	v_sub_f16_e32 v18, v60, v18
	v_sub_f16_e32 v26, v15, v26
	;; [unrolled: 1-line block ×3, first 2 shown]
	v_fma_f16 v20, v22, 2.0, -v14
	v_sub_f16_e32 v22, v57, v62
	v_fma_f16 v16, v16, 2.0, -v19
	v_fma_f16 v21, v25, 2.0, -v24
	;; [unrolled: 1-line block ×3, first 2 shown]
	v_pack_b32_f16 v10, v11, v10
	v_pack_b32_f16 v11, v17, v13
	v_fma_f16 v13, v60, 2.0, -v18
	v_pack_b32_f16 v12, v12, v23
	v_fma_f16 v15, v15, 2.0, -v26
	v_fma_f16 v23, v58, 2.0, -v27
	v_pack_b32_f16 v17, v18, v24
	v_fma_f16 v18, v57, 2.0, -v22
	v_pack_b32_f16 v19, v61, v19
	v_pack_b32_f16 v16, v25, v16
	;; [unrolled: 1-line block ×7, first 2 shown]
	ds_write2_b32 v79, v19, v63 offset0:48 offset1:72
	ds_write2_b32 v79, v16, v10 offset1:24
	ds_write2_b32 v81, v13, v11 offset1:24
	ds_write2_b32 v81, v17, v12 offset0:48 offset1:72
	ds_write2_b32 v80, v18, v15 offset1:24
	ds_write2_b32 v80, v20, v14 offset0:48 offset1:72
	s_waitcnt lgkmcnt(0)
	s_barrier
	buffer_gl0_inv
	ds_read2st64_b32 v[14:15], v40 offset0:16 offset1:20
	ds_read2st64_b32 v[12:13], v40 offset0:24 offset1:28
	;; [unrolled: 1-line block ×5, first 2 shown]
	ds_read2st64_b32 v[24:25], v40 offset1:4
	s_waitcnt lgkmcnt(0)
	s_barrier
	buffer_gl0_inv
	v_mad_u64_u32 v[10:11], null, s50, v37, 0
	v_mad_u64_u32 v[18:19], null, s48, v0, 0
	v_lshrrev_b32_e32 v26, 16, v14
	v_lshrrev_b32_e32 v27, 16, v13
	v_mul_f16_sdwa v57, v4, v14 dst_sel:DWORD dst_unused:UNUSED_PAD src0_sel:WORD_1 src1_sel:DWORD
	v_lshrrev_b32_e32 v58, 16, v16
	v_mul_f16_sdwa v59, v5, v13 dst_sel:DWORD dst_unused:UNUSED_PAD src0_sel:WORD_1 src1_sel:DWORD
	v_mul_f16_sdwa v60, v6, v16 dst_sel:DWORD dst_unused:UNUSED_PAD src0_sel:WORD_1 src1_sel:DWORD
	v_lshrrev_b32_e32 v61, 16, v15
	v_lshrrev_b32_e32 v62, 16, v17
	v_mul_f16_sdwa v63, v7, v15 dst_sel:DWORD dst_unused:UNUSED_PAD src0_sel:WORD_1 src1_sel:DWORD
	v_mul_f16_sdwa v64, v9, v17 dst_sel:DWORD dst_unused:UNUSED_PAD src0_sel:WORD_1 src1_sel:DWORD
	v_lshrrev_b32_e32 v65, 16, v20
	v_mul_f16_sdwa v66, v8, v20 dst_sel:DWORD dst_unused:UNUSED_PAD src0_sel:WORD_1 src1_sel:DWORD
	v_lshrrev_b32_e32 v70, 16, v12
	v_lshrrev_b32_e32 v71, 16, v21
	v_mul_f16_sdwa v76, v3, v21 dst_sel:DWORD dst_unused:UNUSED_PAD src0_sel:WORD_1 src1_sel:DWORD
	v_lshrrev_b32_e32 v77, 16, v23
	v_mul_f16_sdwa v75, v2, v12 dst_sel:DWORD dst_unused:UNUSED_PAD src0_sel:WORD_1 src1_sel:DWORD
	v_mul_f16_sdwa v79, v1, v23 dst_sel:DWORD dst_unused:UNUSED_PAD src0_sel:WORD_1 src1_sel:DWORD
	;; [unrolled: 1-line block ×3, first 2 shown]
	v_fma_f16 v26, v4, v26, -v57
	v_mul_f16_sdwa v57, v5, v27 dst_sel:DWORD dst_unused:UNUSED_PAD src0_sel:WORD_1 src1_sel:DWORD
	v_fma_f16 v27, v5, v27, -v59
	v_mul_f16_sdwa v59, v6, v58 dst_sel:DWORD dst_unused:UNUSED_PAD src0_sel:WORD_1 src1_sel:DWORD
	;; [unrolled: 2-line block ×3, first 2 shown]
	v_mul_f16_sdwa v84, v9, v62 dst_sel:DWORD dst_unused:UNUSED_PAD src0_sel:WORD_1 src1_sel:DWORD
	v_fma_f16 v61, v7, v61, -v63
	v_fma_f16 v62, v9, v62, -v64
	;; [unrolled: 1-line block ×3, first 2 shown]
	v_mul_f16_sdwa v64, v8, v65 dst_sel:DWORD dst_unused:UNUSED_PAD src0_sel:WORD_1 src1_sel:DWORD
	v_mul_f16_sdwa v65, v2, v70 dst_sel:DWORD dst_unused:UNUSED_PAD src0_sel:WORD_1 src1_sel:DWORD
	;; [unrolled: 1-line block ×3, first 2 shown]
	v_fma_f16 v71, v3, v71, -v76
	v_mul_f16_sdwa v76, v1, v77 dst_sel:DWORD dst_unused:UNUSED_PAD src0_sel:WORD_1 src1_sel:DWORD
	v_lshrrev_b32_e32 v80, 16, v24
	v_fma_f16 v70, v2, v70, -v75
	v_fma_f16 v75, v1, v77, -v79
	v_fmac_f16_e32 v65, v2, v12
	v_fmac_f16_e32 v66, v3, v21
	;; [unrolled: 1-line block ×3, first 2 shown]
	v_lshrrev_b32_e32 v81, 16, v25
	v_fmac_f16_e32 v83, v4, v14
	v_fmac_f16_e32 v57, v5, v13
	;; [unrolled: 1-line block ×3, first 2 shown]
	v_lshrrev_b32_e32 v82, 16, v22
	v_fmac_f16_e32 v60, v7, v15
	v_fmac_f16_e32 v84, v9, v17
	;; [unrolled: 1-line block ×3, first 2 shown]
	v_sub_f16_e32 v1, v75, v71
	v_sub_f16_e32 v2, v80, v70
	;; [unrolled: 1-line block ×12, first 2 shown]
	v_fma_f16 v13, v75, 2.0, -v1
	v_fma_f16 v14, v80, 2.0, -v2
	;; [unrolled: 1-line block ×5, first 2 shown]
	v_add_f16_e32 v1, v7, v1
	v_sub_f16_e32 v12, v2, v12
	v_fma_f16 v17, v81, 2.0, -v4
	v_fma_f16 v25, v25, 2.0, -v8
	;; [unrolled: 1-line block ×3, first 2 shown]
	v_add_f16_e32 v3, v8, v3
	v_sub_f16_e32 v15, v4, v15
	v_fma_f16 v20, v82, 2.0, -v5
	v_fma_f16 v23, v61, 2.0, -v6
	;; [unrolled: 1-line block ×4, first 2 shown]
	v_sub_f16_e32 v13, v14, v13
	v_add_f16_e32 v6, v9, v6
	v_sub_f16_e32 v21, v5, v21
	v_fma_f16 v7, v7, 2.0, -v1
	v_fma_f16 v2, v2, 2.0, -v12
	v_pack_b32_f16 v1, v1, v12
	v_sub_f16_e32 v12, v24, v26
	v_sub_f16_e32 v16, v17, v16
	v_fma_f16 v8, v8, 2.0, -v3
	v_fma_f16 v4, v4, 2.0, -v15
	v_pack_b32_f16 v3, v3, v15
	v_sub_f16_e32 v15, v25, v27
	v_sub_f16_e32 v23, v20, v23
	;; [unrolled: 1-line block ×3, first 2 shown]
	v_fma_f16 v14, v14, 2.0, -v13
	v_fma_f16 v9, v9, 2.0, -v6
	;; [unrolled: 1-line block ×3, first 2 shown]
	v_pack_b32_f16 v6, v6, v21
	v_fma_f16 v21, v24, 2.0, -v12
	v_fma_f16 v17, v17, 2.0, -v16
	;; [unrolled: 1-line block ×5, first 2 shown]
	v_pack_b32_f16 v2, v7, v2
	v_pack_b32_f16 v7, v12, v13
	;; [unrolled: 1-line block ×9, first 2 shown]
	ds_write2_b32 v74, v7, v1 offset0:64 offset1:160
	ds_write2_b32 v69, v9, v2 offset1:96
	ds_write2_b32 v68, v12, v4 offset1:96
	ds_write2_b32 v73, v8, v3 offset0:64 offset1:160
	ds_write2_b32 v67, v14, v5 offset1:96
	ds_write2_b32 v72, v13, v6 offset0:64 offset1:160
	s_waitcnt lgkmcnt(0)
	s_barrier
	buffer_gl0_inv
	ds_read2st64_b32 v[1:2], v40 offset1:4
	ds_read2st64_b32 v[3:4], v40 offset0:8 offset1:12
	ds_read2st64_b32 v[5:6], v40 offset0:24 offset1:28
	;; [unrolled: 1-line block ×5, first 2 shown]
	v_mov_b32_e32 v9, v19
	s_waitcnt lgkmcnt(0)
	s_barrier
	buffer_gl0_inv
	v_mad_u64_u32 v[19:20], null, s49, v0, v[9:10]
	v_lshrrev_b32_e32 v0, 16, v1
	v_lshrrev_b32_e32 v9, 16, v4
	v_mul_f16_sdwa v25, v28, v4 dst_sel:DWORD dst_unused:UNUSED_PAD src0_sel:WORD_1 src1_sel:DWORD
	v_mul_f16_sdwa v27, v29, v5 dst_sel:DWORD dst_unused:UNUSED_PAD src0_sel:WORD_1 src1_sel:DWORD
	v_mad_u64_u32 v[16:17], null, s51, v37, v[11:12]
	v_lshrrev_b32_e32 v17, 16, v8
	v_lshrrev_b32_e32 v21, 16, v12
	;; [unrolled: 1-line block ×4, first 2 shown]
	v_mul_f16_sdwa v37, v30, v8 dst_sel:DWORD dst_unused:UNUSED_PAD src0_sel:WORD_1 src1_sel:DWORD
	v_mul_f16_sdwa v57, v35, v6 dst_sel:DWORD dst_unused:UNUSED_PAD src0_sel:WORD_1 src1_sel:DWORD
	v_mov_b32_e32 v11, v16
	v_lshrrev_b32_e32 v16, 16, v5
	v_mul_f16_sdwa v58, v34, v12 dst_sel:DWORD dst_unused:UNUSED_PAD src0_sel:WORD_1 src1_sel:DWORD
	v_lshrrev_b32_e32 v24, 16, v13
	v_lshrrev_b32_e32 v26, 16, v7
	;; [unrolled: 1-line block ×3, first 2 shown]
	v_mul_f16_sdwa v60, v36, v14 dst_sel:DWORD dst_unused:UNUSED_PAD src0_sel:WORD_1 src1_sel:DWORD
	v_mul_f16_sdwa v61, v31, v13 dst_sel:DWORD dst_unused:UNUSED_PAD src0_sel:WORD_1 src1_sel:DWORD
	;; [unrolled: 1-line block ×4, first 2 shown]
	v_fma_f16 v9, v28, v9, -v25
	v_mul_f16_sdwa v25, v29, v16 dst_sel:DWORD dst_unused:UNUSED_PAD src0_sel:WORD_1 src1_sel:DWORD
	v_fma_f16 v16, v29, v16, -v27
	v_mul_f16_sdwa v27, v30, v17 dst_sel:DWORD dst_unused:UNUSED_PAD src0_sel:WORD_1 src1_sel:DWORD
	;; [unrolled: 2-line block ×3, first 2 shown]
	v_fma_f16 v22, v35, v22, -v57
	v_fma_f16 v57, v34, v21, -v58
	v_mul_f16_sdwa v21, v34, v21 dst_sel:DWORD dst_unused:UNUSED_PAD src0_sel:WORD_1 src1_sel:DWORD
	v_mul_f16_sdwa v58, v36, v23 dst_sel:DWORD dst_unused:UNUSED_PAD src0_sel:WORD_1 src1_sel:DWORD
	;; [unrolled: 1-line block ×3, first 2 shown]
	v_fma_f16 v23, v36, v23, -v60
	v_mul_f16_sdwa v60, v31, v24 dst_sel:DWORD dst_unused:UNUSED_PAD src0_sel:WORD_1 src1_sel:DWORD
	v_fma_f16 v24, v31, v24, -v61
	v_mul_f16_sdwa v61, v32, v26 dst_sel:DWORD dst_unused:UNUSED_PAD src0_sel:WORD_1 src1_sel:DWORD
	;; [unrolled: 2-line block ×3, first 2 shown]
	v_fmac_f16_e32 v65, v28, v4
	v_fmac_f16_e32 v25, v29, v5
	;; [unrolled: 1-line block ×3, first 2 shown]
	v_lshrrev_b32_e32 v20, 16, v2
	v_fmac_f16_e32 v37, v35, v6
	v_fmac_f16_e32 v21, v34, v12
	;; [unrolled: 1-line block ×3, first 2 shown]
	v_lshrrev_b32_e32 v64, 16, v3
	v_fma_f16 v59, v33, v59, -v63
	v_fmac_f16_e32 v60, v31, v13
	v_fmac_f16_e32 v61, v32, v7
	;; [unrolled: 1-line block ×3, first 2 shown]
	v_sub_f16_e32 v4, v0, v16
	v_sub_f16_e32 v5, v9, v17
	;; [unrolled: 1-line block ×12, first 2 shown]
	v_fma_f16 v0, v0, 2.0, -v4
	v_fma_f16 v9, v9, 2.0, -v5
	;; [unrolled: 1-line block ×12, first 2 shown]
	v_sub_f16_e32 v9, v0, v9
	v_add_f16_e32 v5, v13, v5
	v_sub_f16_e32 v14, v4, v14
	v_sub_f16_e32 v26, v1, v26
	v_sub_f16_e32 v20, v16, v20
	v_add_f16_e32 v7, v15, v7
	v_sub_f16_e32 v17, v6, v17
	v_sub_f16_e32 v21, v2, v21
	;; [unrolled: 4-line block ×3, first 2 shown]
	v_fma_f16 v0, v0, 2.0, -v9
	v_fma_f16 v13, v13, 2.0, -v5
	;; [unrolled: 1-line block ×12, first 2 shown]
	v_pack_b32_f16 v5, v5, v14
	v_pack_b32_f16 v9, v26, v9
	;; [unrolled: 1-line block ×12, first 2 shown]
	ds_write2st64_b32 v40, v9, v5 offset0:12 offset1:18
	ds_write2st64_b32 v40, v0, v4 offset1:6
	ds_write2st64_b32 v78, v1, v6 offset1:6
	ds_write2st64_b32 v78, v13, v7 offset0:12 offset1:18
	ds_write2st64_b32 v40, v3, v8 offset0:26 offset1:32
	;; [unrolled: 1-line block ×3, first 2 shown]
	s_waitcnt lgkmcnt(0)
	s_barrier
	buffer_gl0_inv
	ds_read2st64_b32 v[0:1], v40 offset1:4
	ds_read2st64_b32 v[2:3], v40 offset0:24 offset1:28
	ds_read2st64_b32 v[4:5], v40 offset0:8 offset1:12
	;; [unrolled: 1-line block ×3, first 2 shown]
	v_lshlrev_b64 v[14:15], 2, v[10:11]
	ds_read2st64_b32 v[8:9], v40 offset0:16 offset1:20
	ds_read2st64_b32 v[10:11], v40 offset0:40 offset1:44
	v_lshlrev_b64 v[12:13], 2, v[18:19]
	s_lshl_b64 s[50:51], s[48:49], 11
	v_add_co_u32 v14, vcc_lo, s0, v14
	v_add_co_ci_u32_e32 v15, vcc_lo, s1, v15, vcc_lo
	s_mov_b32 s0, 0x55555555
	v_add_co_u32 v12, vcc_lo, v14, v12
	v_add_co_ci_u32_e32 v13, vcc_lo, v15, v13, vcc_lo
	s_mov_b32 s1, 0x3f355555
	s_waitcnt lgkmcnt(5)
	v_lshrrev_b32_e32 v14, 16, v0
	s_waitcnt lgkmcnt(4)
	v_lshrrev_b32_e32 v15, 16, v2
	v_lshrrev_b32_e32 v17, 16, v3
	v_mul_f16_sdwa v26, v38, v2 dst_sel:DWORD dst_unused:UNUSED_PAD src0_sel:WORD_1 src1_sel:DWORD
	s_waitcnt lgkmcnt(2)
	v_lshrrev_b32_e32 v19, 16, v6
	v_lshrrev_b32_e32 v21, 16, v7
	v_mul_f16_sdwa v27, v39, v3 dst_sel:DWORD dst_unused:UNUSED_PAD src0_sel:WORD_1 src1_sel:DWORD
	v_mul_f16_sdwa v28, v53, v6 dst_sel:DWORD dst_unused:UNUSED_PAD src0_sel:WORD_1 src1_sel:DWORD
	s_waitcnt lgkmcnt(0)
	v_lshrrev_b32_e32 v23, 16, v10
	v_lshrrev_b32_e32 v25, 16, v11
	v_mul_f16_sdwa v29, v54, v7 dst_sel:DWORD dst_unused:UNUSED_PAD src0_sel:WORD_1 src1_sel:DWORD
	v_mul_f16_sdwa v30, v55, v10 dst_sel:DWORD dst_unused:UNUSED_PAD src0_sel:WORD_1 src1_sel:DWORD
	;; [unrolled: 1-line block ×3, first 2 shown]
	v_fma_f16 v15, v38, v15, -v26
	v_mul_f16_sdwa v26, v39, v17 dst_sel:DWORD dst_unused:UNUSED_PAD src0_sel:WORD_1 src1_sel:DWORD
	v_fma_f16 v17, v39, v17, -v27
	v_mul_f16_sdwa v27, v53, v19 dst_sel:DWORD dst_unused:UNUSED_PAD src0_sel:WORD_1 src1_sel:DWORD
	;; [unrolled: 2-line block ×3, first 2 shown]
	v_mul_f16_sdwa v31, v56, v11 dst_sel:DWORD dst_unused:UNUSED_PAD src0_sel:WORD_1 src1_sel:DWORD
	v_fma_f16 v21, v54, v21, -v29
	v_mul_f16_sdwa v29, v55, v23 dst_sel:DWORD dst_unused:UNUSED_PAD src0_sel:WORD_1 src1_sel:DWORD
	v_fma_f16 v23, v55, v23, -v30
	v_mul_f16_sdwa v30, v56, v25 dst_sel:DWORD dst_unused:UNUSED_PAD src0_sel:WORD_1 src1_sel:DWORD
	v_lshrrev_b32_e32 v16, 16, v1
	v_fmac_f16_e32 v32, v38, v2
	v_fmac_f16_e32 v26, v39, v3
	v_lshrrev_b32_e32 v18, 16, v4
	v_lshrrev_b32_e32 v20, 16, v5
	v_fmac_f16_e32 v27, v53, v6
	v_fmac_f16_e32 v28, v54, v7
	v_lshrrev_b32_e32 v22, 16, v8
	v_lshrrev_b32_e32 v24, 16, v9
	v_fma_f16 v25, v56, v25, -v31
	v_fmac_f16_e32 v29, v55, v10
	v_fmac_f16_e32 v30, v56, v11
	v_sub_f16_e32 v2, v14, v15
	v_sub_f16_e32 v3, v16, v17
	;; [unrolled: 1-line block ×12, first 2 shown]
	v_fma_f16 v14, v14, 2.0, -v2
	v_fma_f16 v16, v16, 2.0, -v3
	;; [unrolled: 1-line block ×8, first 2 shown]
	v_pack_b32_f16 v2, v15, v2
	v_pack_b32_f16 v3, v17, v3
	v_fma_f16 v22, v22, 2.0, -v10
	v_fma_f16 v24, v24, 2.0, -v11
	;; [unrolled: 1-line block ×4, first 2 shown]
	v_pack_b32_f16 v6, v19, v6
	v_pack_b32_f16 v7, v21, v7
	;; [unrolled: 1-line block ×6, first 2 shown]
	ds_write2st64_b32 v40, v2, v3 offset0:24 offset1:28
	v_pack_b32_f16 v2, v4, v18
	v_pack_b32_f16 v3, v5, v20
	;; [unrolled: 1-line block ×4, first 2 shown]
	ds_write2st64_b32 v40, v6, v7 offset0:32 offset1:36
	ds_write2st64_b32 v40, v10, v11 offset0:40 offset1:44
	ds_write2st64_b32 v40, v0, v1 offset1:4
	ds_write2st64_b32 v40, v2, v3 offset0:8 offset1:12
	ds_write2st64_b32 v40, v4, v5 offset0:16 offset1:20
	s_waitcnt lgkmcnt(0)
	s_barrier
	buffer_gl0_inv
	ds_read2st64_b32 v[6:7], v40 offset1:4
	ds_read2st64_b32 v[8:9], v40 offset0:8 offset1:12
	ds_read2st64_b32 v[10:11], v40 offset0:16 offset1:20
	;; [unrolled: 1-line block ×5, first 2 shown]
	v_add_co_u32 v0, vcc_lo, v12, s50
	v_add_co_ci_u32_e32 v1, vcc_lo, s51, v13, vcc_lo
	v_add_co_u32 v2, vcc_lo, v0, s50
	v_add_co_ci_u32_e32 v3, vcc_lo, s51, v1, vcc_lo
	;; [unrolled: 2-line block ×3, first 2 shown]
	s_waitcnt lgkmcnt(5)
	v_lshrrev_b32_e32 v20, 16, v6
	v_mul_f16_sdwa v21, v41, v6 dst_sel:DWORD dst_unused:UNUSED_PAD src0_sel:WORD_1 src1_sel:DWORD
	s_waitcnt lgkmcnt(4)
	v_lshrrev_b32_e32 v22, 16, v8
	v_mul_f16_sdwa v23, v42, v8 dst_sel:DWORD dst_unused:UNUSED_PAD src0_sel:WORD_1 src1_sel:DWORD
	s_waitcnt lgkmcnt(2)
	v_lshrrev_b32_e32 v26, 16, v14
	v_mul_f16_sdwa v27, v44, v14 dst_sel:DWORD dst_unused:UNUSED_PAD src0_sel:WORD_1 src1_sel:DWORD
	v_lshrrev_b32_e32 v32, 16, v7
	v_mul_f16_sdwa v56, v41, v20 dst_sel:DWORD dst_unused:UNUSED_PAD src0_sel:WORD_1 src1_sel:DWORD
	v_fma_f16 v20, v41, v20, -v21
	v_fma_f16 v21, v42, v22, -v23
	v_lshrrev_b32_e32 v24, 16, v10
	v_mul_f16_sdwa v25, v43, v10 dst_sel:DWORD dst_unused:UNUSED_PAD src0_sel:WORD_1 src1_sel:DWORD
	s_waitcnt lgkmcnt(1)
	v_lshrrev_b32_e32 v28, 16, v16
	v_mul_f16_sdwa v29, v45, v16 dst_sel:DWORD dst_unused:UNUSED_PAD src0_sel:WORD_1 src1_sel:DWORD
	v_mul_f16_sdwa v33, v47, v7 dst_sel:DWORD dst_unused:UNUSED_PAD src0_sel:WORD_1 src1_sel:DWORD
	v_lshrrev_b32_e32 v36, 16, v11
	v_fma_f16 v23, v44, v26, -v27
	v_mul_f16_sdwa v62, v47, v32 dst_sel:DWORD dst_unused:UNUSED_PAD src0_sel:WORD_1 src1_sel:DWORD
	v_cvt_f32_f16_e32 v21, v21
	s_waitcnt lgkmcnt(0)
	v_lshrrev_b32_e32 v30, 16, v18
	v_mul_f16_sdwa v31, v46, v18 dst_sel:DWORD dst_unused:UNUSED_PAD src0_sel:WORD_1 src1_sel:DWORD
	v_lshrrev_b32_e32 v34, 16, v9
	v_mul_f16_sdwa v35, v48, v9 dst_sel:DWORD dst_unused:UNUSED_PAD src0_sel:WORD_1 src1_sel:DWORD
	;; [unrolled: 2-line block ×3, first 2 shown]
	v_mul_f16_sdwa v58, v43, v24 dst_sel:DWORD dst_unused:UNUSED_PAD src0_sel:WORD_1 src1_sel:DWORD
	v_fma_f16 v22, v43, v24, -v25
	v_mul_f16_sdwa v59, v44, v26 dst_sel:DWORD dst_unused:UNUSED_PAD src0_sel:WORD_1 src1_sel:DWORD
	v_fma_f16 v24, v45, v28, -v29
	v_fma_f16 v26, v47, v32, -v33
	v_mul_f16_sdwa v33, v49, v36 dst_sel:DWORD dst_unused:UNUSED_PAD src0_sel:WORD_1 src1_sel:DWORD
	v_cvt_f32_f16_e32 v23, v23
	v_fmac_f16_e32 v56, v41, v6
	v_fmac_f16_e32 v62, v47, v7
	v_cvt_f64_f32_e32 v[6:7], v21
	v_mul_f16_sdwa v37, v49, v11 dst_sel:DWORD dst_unused:UNUSED_PAD src0_sel:WORD_1 src1_sel:DWORD
	v_mul_f16_sdwa v39, v50, v15 dst_sel:DWORD dst_unused:UNUSED_PAD src0_sel:WORD_1 src1_sel:DWORD
	v_lshrrev_b32_e32 v40, 16, v17
	v_mul_f16_sdwa v53, v51, v17 dst_sel:DWORD dst_unused:UNUSED_PAD src0_sel:WORD_1 src1_sel:DWORD
	v_lshrrev_b32_e32 v54, 16, v19
	v_mul_f16_sdwa v55, v52, v19 dst_sel:DWORD dst_unused:UNUSED_PAD src0_sel:WORD_1 src1_sel:DWORD
	v_fma_f16 v25, v46, v30, -v31
	v_mul_f16_sdwa v32, v48, v34 dst_sel:DWORD dst_unused:UNUSED_PAD src0_sel:WORD_1 src1_sel:DWORD
	v_fma_f16 v27, v48, v34, -v35
	v_mul_f16_sdwa v34, v50, v38 dst_sel:DWORD dst_unused:UNUSED_PAD src0_sel:WORD_1 src1_sel:DWORD
	v_cvt_f32_f16_e32 v24, v24
	v_fmac_f16_e32 v58, v43, v10
	v_fmac_f16_e32 v33, v49, v11
	v_cvt_f64_f32_e32 v[10:11], v23
	v_mul_f16_sdwa v60, v45, v28 dst_sel:DWORD dst_unused:UNUSED_PAD src0_sel:WORD_1 src1_sel:DWORD
	v_mul_f16_sdwa v61, v46, v30 dst_sel:DWORD dst_unused:UNUSED_PAD src0_sel:WORD_1 src1_sel:DWORD
	v_fma_f16 v28, v49, v36, -v37
	v_fma_f16 v29, v50, v38, -v39
	v_mul_f16_sdwa v35, v51, v40 dst_sel:DWORD dst_unused:UNUSED_PAD src0_sel:WORD_1 src1_sel:DWORD
	v_fma_f16 v30, v51, v40, -v53
	v_mul_f16_sdwa v36, v52, v54 dst_sel:DWORD dst_unused:UNUSED_PAD src0_sel:WORD_1 src1_sel:DWORD
	v_fma_f16 v31, v52, v54, -v55
	v_cvt_f32_f16_e32 v25, v25
	v_fmac_f16_e32 v57, v42, v8
	v_fmac_f16_e32 v59, v44, v14
	;; [unrolled: 1-line block ×3, first 2 shown]
	v_cvt_f64_f32_e32 v[14:15], v24
	v_fmac_f16_e32 v60, v45, v16
	v_fmac_f16_e32 v61, v46, v18
	;; [unrolled: 1-line block ×3, first 2 shown]
	v_cvt_f32_f16_e32 v22, v22
	v_cvt_f32_f16_e32 v26, v26
	;; [unrolled: 1-line block ×8, first 2 shown]
	v_fmac_f16_e32 v35, v51, v17
	v_fmac_f16_e32 v36, v52, v19
	v_cvt_f64_f32_e32 v[16:17], v25
	v_cvt_f32_f16_e32 v38, v56
	v_cvt_f32_f16_e32 v39, v57
	;; [unrolled: 1-line block ×10, first 2 shown]
	v_cvt_f64_f32_e32 v[8:9], v22
	v_cvt_f64_f32_e32 v[18:19], v26
	v_cvt_f64_f32_e32 v[20:21], v27
	v_cvt_f64_f32_e32 v[22:23], v28
	v_cvt_f64_f32_e32 v[24:25], v29
	v_cvt_f64_f32_e32 v[26:27], v30
	v_cvt_f64_f32_e32 v[28:29], v31
	v_cvt_f64_f32_e32 v[30:31], v37
	v_cvt_f32_f16_e32 v52, v35
	v_cvt_f32_f16_e32 v54, v36
	v_cvt_f64_f32_e32 v[32:33], v38
	v_cvt_f64_f32_e32 v[34:35], v39
	;; [unrolled: 1-line block ×10, first 2 shown]
	v_mul_f64 v[6:7], v[6:7], s[0:1]
	v_cvt_f64_f32_e32 v[54:55], v54
	v_mul_f64 v[10:11], v[10:11], s[0:1]
	v_mul_f64 v[14:15], v[14:15], s[0:1]
	;; [unrolled: 1-line block ×3, first 2 shown]
	v_cvt_f64_f32_e32 v[52:53], v52
	v_mul_f64 v[8:9], v[8:9], s[0:1]
	v_mul_f64 v[58:59], v[18:19], s[0:1]
	;; [unrolled: 1-line block ×18, first 2 shown]
	v_and_or_b32 v51, 0x1ff, v7, v6
	v_mul_f64 v[60:61], v[54:55], s[0:1]
	v_and_or_b32 v54, 0x1ff, v11, v10
	v_and_or_b32 v65, 0x1ff, v15, v14
	;; [unrolled: 1-line block ×3, first 2 shown]
	v_cmp_ne_u32_e32 vcc_lo, 0, v51
	v_mul_f64 v[49:50], v[52:53], s[0:1]
	v_and_or_b32 v53, 0x1ff, v9, v8
	v_lshrrev_b32_e32 v63, 8, v9
	v_bfe_u32 v64, v9, 20, 11
	v_cndmask_b32_e64 v51, 0, 1, vcc_lo
	v_cmp_ne_u32_e32 vcc_lo, 0, v54
	v_and_or_b32 v58, 0x1ff, v59, v58
	v_and_or_b32 v73, 0x1ff, v20, v19
	;; [unrolled: 1-line block ×3, first 2 shown]
	v_lshrrev_b32_e32 v78, 8, v22
	v_cndmask_b32_e64 v54, 0, 1, vcc_lo
	v_cmp_ne_u32_e32 vcc_lo, 0, v65
	v_bfe_u32 v79, v22, 20, 11
	v_and_or_b32 v89, 0x1ff, v17, v16
	v_lshrrev_b32_e32 v90, 8, v17
	v_bfe_u32 v91, v17, 20, 11
	v_lshrrev_b32_e32 v19, 16, v17
	v_lshrrev_b32_e32 v17, 16, v9
	;; [unrolled: 1-line block ×3, first 2 shown]
	v_and_or_b32 v33, 0x1ff, v34, v33
	v_lshrrev_b32_e32 v101, 8, v34
	v_bfe_u32 v102, v34, 20, 11
	v_lshrrev_b32_e32 v22, 16, v34
	v_cndmask_b32_e64 v34, 0, 1, vcc_lo
	v_cmp_ne_u32_e32 vcc_lo, 0, v67
	v_lshrrev_b32_e32 v52, 8, v7
	v_bfe_u32 v62, v7, 20, 11
	v_and_or_b32 v83, 0x1ff, v26, v25
	v_lshrrev_b32_e32 v84, 8, v26
	v_bfe_u32 v85, v26, 20, 11
	v_lshrrev_b32_e32 v18, 16, v7
	v_lshrrev_b32_e32 v7, 16, v26
	v_and_or_b32 v41, 0x1ff, v42, v41
	v_lshrrev_b32_e32 v109, 8, v42
	v_bfe_u32 v110, v42, 20, 11
	v_lshrrev_b32_e32 v26, 16, v42
	v_cndmask_b32_e64 v42, 0, 1, vcc_lo
	v_cmp_ne_u32_e32 vcc_lo, 0, v58
	v_lshrrev_b32_e32 v55, 8, v11
	v_lshrrev_b32_e32 v70, 8, v57
	v_and_or_b32 v80, 0x1ff, v24, v23
	v_and_or_b32 v35, 0x1ff, v36, v35
	v_lshrrev_b32_e32 v103, 8, v36
	v_bfe_u32 v104, v36, 20, 11
	v_lshrrev_b32_e32 v23, 16, v36
	v_and_or_b32 v36, 0x1ff, v48, v47
	v_cndmask_b32_e64 v47, 0, 1, vcc_lo
	v_cmp_ne_u32_e32 vcc_lo, 0, v73
	v_and_or_b32 v56, 0xffe, v55, v54
	v_and_or_b32 v54, 0xffe, v70, v42
	v_bfe_u32 v68, v11, 20, 11
	v_lshrrev_b32_e32 v66, 8, v15
	v_cndmask_b32_e64 v42, 0, 1, vcc_lo
	v_cmp_ne_u32_e32 vcc_lo, 0, v53
	v_bfe_u32 v72, v57, 20, 11
	v_lshrrev_b32_e32 v71, 8, v59
	v_bfe_u32 v75, v59, 20, 11
	v_lshrrev_b32_e32 v16, 16, v11
	v_lshrrev_b32_e32 v14, 16, v57
	;; [unrolled: 1-line block ×3, first 2 shown]
	v_sub_nc_u32_e32 v59, 0x3f1, v62
	v_and_or_b32 v57, 0xffe, v52, v51
	v_cndmask_b32_e64 v70, 0, 1, vcc_lo
	v_cmp_ne_u32_e32 vcc_lo, 0, v77
	v_lshrrev_b32_e32 v74, 8, v20
	v_bfe_u32 v76, v20, 20, 11
	v_lshrrev_b32_e32 v10, 16, v20
	v_and_or_b32 v96, 0x1ff, v30, v29
	v_lshrrev_b32_e32 v97, 8, v30
	v_bfe_u32 v98, v30, 20, 11
	v_and_or_b32 v39, 0x1ff, v40, v39
	v_lshrrev_b32_e32 v107, 8, v40
	v_bfe_u32 v108, v40, 20, 11
	v_lshrrev_b32_e32 v20, 16, v30
	v_lshrrev_b32_e32 v25, 16, v40
	v_and_or_b32 v40, 0x1ff, v50, v49
	v_lshrrev_b32_e32 v115, 8, v50
	v_bfe_u32 v116, v50, 20, 11
	v_lshrrev_b32_e32 v30, 16, v50
	v_and_or_b32 v55, 0xffe, v66, v34
	v_and_or_b32 v34, 0xffe, v71, v47
	v_cndmask_b32_e64 v47, 0, 1, vcc_lo
	v_med3_i32 v49, v59, 0, 13
	v_or_b32_e32 v50, 0x1000, v57
	v_cmp_ne_u32_e32 vcc_lo, 0, v80
	v_bfe_u32 v69, v15, 20, 11
	v_and_or_b32 v86, 0x1ff, v28, v27
	v_sub_nc_u32_e32 v93, 0x3f1, v68
	v_lshrrev_b32_e32 v77, v49, v50
	v_cndmask_b32_e64 v51, 0, 1, vcc_lo
	v_cmp_ne_u32_e32 vcc_lo, 0, v83
	v_sub_nc_u32_e32 v94, 0x3f1, v69
	v_med3_i32 v66, v93, 0, 13
	v_lshlrev_b32_e32 v71, v49, v77
	v_or_b32_e32 v73, 0x1000, v56
	v_cndmask_b32_e64 v53, 0, 1, vcc_lo
	v_cmp_ne_u32_e32 vcc_lo, 0, v86
	v_lshrrev_b32_e32 v81, 8, v24
	v_bfe_u32 v82, v24, 20, 11
	v_lshrrev_b32_e32 v87, 8, v28
	v_sub_nc_u32_e32 v95, 0x3f1, v72
	v_and_or_b32 v47, 0xffe, v78, v47
	v_cndmask_b32_e64 v59, 0, 1, vcc_lo
	v_med3_i32 v67, v94, 0, 13
	v_cmp_ne_u32_e32 vcc_lo, v71, v50
	v_or_b32_e32 v71, 0x1000, v55
	v_lshrrev_b32_e32 v78, v66, v73
	v_and_or_b32 v43, 0x1ff, v44, v43
	v_lshrrev_b32_e32 v111, 8, v44
	v_bfe_u32 v112, v44, 20, 11
	v_lshrrev_b32_e32 v27, 16, v44
	v_sub_nc_u32_e32 v44, 0x3f1, v75
	v_sub_nc_u32_e32 v52, 0x3f1, v82
	v_and_or_b32 v42, 0xffe, v74, v42
	v_and_or_b32 v49, 0xffe, v81, v51
	v_med3_i32 v74, v95, 0, 13
	v_and_or_b32 v50, 0xffe, v84, v53
	v_lshrrev_b32_e32 v80, v67, v71
	v_lshlrev_b32_e32 v53, v66, v78
	v_and_or_b32 v51, 0xffe, v87, v59
	v_or_b32_e32 v59, 0x1000, v54
	v_bfe_u32 v88, v28, 20, 11
	v_lshrrev_b32_e32 v6, 16, v28
	v_and_or_b32 v31, 0x1ff, v32, v31
	v_lshrrev_b32_e32 v99, 8, v32
	v_bfe_u32 v100, v32, 20, 11
	v_lshrrev_b32_e32 v21, 16, v32
	v_and_or_b32 v32, 0x1ff, v46, v45
	v_lshrrev_b32_e32 v45, 8, v46
	v_bfe_u32 v113, v46, 20, 11
	v_lshrrev_b32_e32 v28, 16, v46
	v_sub_nc_u32_e32 v46, 0x3f1, v76
	v_med3_i32 v44, v44, 0, 13
	v_med3_i32 v66, v52, 0, 13
	v_lshlrev_b32_e32 v52, v67, v80
	v_cmp_ne_u32_e64 s0, v53, v73
	v_or_b32_e32 v53, 0x1000, v34
	v_lshrrev_b32_e32 v81, v74, v59
	v_cmp_ne_u32_e64 s2, 0, v96
	v_lshrrev_b32_e32 v8, 16, v24
	v_and_or_b32 v37, 0x1ff, v38, v37
	v_lshrrev_b32_e32 v105, 8, v38
	v_bfe_u32 v106, v38, 20, 11
	v_lshrrev_b32_e32 v24, 16, v38
	v_lshrrev_b32_e32 v38, 8, v48
	v_bfe_u32 v114, v48, 20, 11
	v_lshrrev_b32_e32 v29, 16, v48
	v_sub_nc_u32_e32 v48, 0x3f1, v79
	v_med3_i32 v46, v46, 0, 13
	v_cmp_ne_u32_e64 s1, v52, v71
	v_lshrrev_b32_e32 v83, v44, v53
	v_lshlrev_b32_e32 v52, v74, v81
	v_cndmask_b32_e64 v67, 0, 1, s2
	v_or_b32_e32 v71, 0x1000, v42
	v_cmp_ne_u32_e64 s3, 0, v31
	v_med3_i32 v48, v48, 0, 13
	v_lshlrev_b32_e32 v44, v44, v83
	v_cmp_ne_u32_e64 s2, v52, v59
	v_lshrrev_b32_e32 v84, v46, v71
	v_cndmask_b32_e64 v31, 0, 1, s3
	v_or_b32_e32 v73, 0x1000, v47
	v_and_or_b32 v52, 0xffe, v97, v67
	v_or_b32_e32 v67, 0x1000, v49
	v_cmp_ne_u32_e64 s4, 0, v33
	v_sub_nc_u32_e32 v58, 0x3f1, v85
	v_sub_nc_u32_e32 v65, 0x3f1, v88
	v_cmp_ne_u32_e64 s3, v44, v53
	v_lshlrev_b32_e32 v46, v46, v84
	v_and_or_b32 v53, 0xffe, v99, v31
	v_lshrrev_b32_e32 v86, v48, v73
	v_cndmask_b32_e64 v31, 0, 1, s4
	v_lshrrev_b32_e32 v87, v66, v67
	v_med3_i32 v58, v58, 0, 13
	v_med3_i32 v65, v65, 0, 13
	v_sub_nc_u32_e32 v59, 0x3f1, v98
	v_cmp_ne_u32_e64 s4, v46, v71
	v_lshlrev_b32_e32 v33, v48, v86
	v_or_b32_e32 v46, 0x1000, v50
	v_and_or_b32 v48, 0xffe, v101, v31
	v_or_b32_e32 v31, 0x1000, v51
	v_lshlrev_b32_e32 v66, v66, v87
	v_med3_i32 v59, v59, 0, 13
	v_lshrrev_b32_e32 v93, v58, v46
	v_cmp_ne_u32_e64 s7, 0, v35
	v_lshrrev_b32_e32 v94, v65, v31
	v_cmp_ne_u32_e64 s6, v66, v67
	v_or_b32_e32 v66, 0x1000, v52
	v_sub_nc_u32_e32 v44, 0x3f1, v100
	v_cmp_ne_u32_e64 s5, v33, v73
	v_sub_nc_u32_e32 v33, 0x3f1, v102
	v_lshlrev_b32_e32 v58, v58, v93
	v_cndmask_b32_e64 v35, 0, 1, s7
	v_lshlrev_b32_e32 v65, v65, v94
	v_lshrrev_b32_e32 v95, v59, v66
	v_cmp_ne_u32_e64 s9, 0, v37
	v_cmp_ne_u32_e64 s7, v58, v46
	v_sub_nc_u32_e32 v46, 0x3f1, v104
	v_med3_i32 v44, v44, 0, 13
	v_cmp_ne_u32_e64 s8, v65, v31
	v_or_b32_e32 v31, 0x1000, v53
	v_lshlrev_b32_e32 v58, v59, v95
	v_cndmask_b32_e64 v37, 0, 1, s9
	v_med3_i32 v33, v33, 0, 13
	v_or_b32_e32 v59, 0x1000, v48
	v_and_or_b32 v65, 0xffe, v103, v35
	v_cmp_ne_u32_e64 s9, v58, v66
	v_lshrrev_b32_e32 v96, v44, v31
	v_med3_i32 v35, v46, 0, 13
	v_lshrrev_b32_e32 v97, v33, v59
	v_and_or_b32 v66, 0xffe, v105, v37
	v_or_b32_e32 v37, 0x1000, v65
	v_cmp_ne_u32_e64 s11, 0, v39
	v_sub_nc_u32_e32 v58, 0x3f1, v106
	v_lshlrev_b32_e32 v44, v44, v96
	v_lshlrev_b32_e32 v33, v33, v97
	v_lshrrev_b32_e32 v99, v35, v37
	v_cndmask_b32_e64 v39, 0, 1, s11
	v_med3_i32 v46, v58, 0, 13
	v_cmp_ne_u32_e64 s10, v44, v31
	v_or_b32_e32 v31, 0x1000, v66
	v_cmp_ne_u32_e64 s11, v33, v59
	v_sub_nc_u32_e32 v33, 0x3f1, v108
	v_lshlrev_b32_e32 v35, v35, v99
	v_and_or_b32 v67, 0xffe, v107, v39
	v_lshrrev_b32_e32 v101, v46, v31
	v_cmp_ne_u32_e64 s13, 0, v41
	v_med3_i32 v33, v33, 0, 13
	v_cmp_ne_u32_e64 s12, v35, v37
	v_or_b32_e32 v35, 0x1000, v67
	v_lshlrev_b32_e32 v39, v46, v101
	v_cndmask_b32_e64 v41, 0, 1, s13
	v_cmp_ne_u32_e64 s14, 0, v89
	v_and_or_b32 v58, 0x1ff, v61, v60
	v_lshrrev_b32_e32 v103, v33, v35
	v_cmp_ne_u32_e64 s13, v39, v31
	v_sub_nc_u32_e32 v39, 0x3f1, v110
	v_and_or_b32 v59, 0xffe, v109, v41
	v_cndmask_b32_e64 v60, 0, 1, s14
	v_lshlrev_b32_e32 v33, v33, v103
	v_cmp_ne_u32_e64 s15, 0, v43
	v_med3_i32 v39, v39, 0, 13
	v_sub_nc_u32_e32 v92, 0x3f1, v64
	v_add_nc_u32_e32 v109, 0xfffffc10, v64
	v_cmp_ne_u32_e64 s14, v33, v35
	v_or_b32_e32 v33, 0x1000, v59
	v_cndmask_b32_e64 v35, 0, 1, s15
	v_cmp_ne_u32_e64 s15, 0, v32
	v_cmp_ne_u32_e64 s16, 0, v36
	v_add_nc_u32_e32 v74, 0xfffffc10, v68
	v_lshrrev_b32_e32 v107, v39, v33
	v_and_or_b32 v64, 0xffe, v111, v35
	v_sub_nc_u32_e32 v35, 0x3f1, v112
	v_cndmask_b32_e64 v32, 0, 1, s15
	v_cndmask_b32_e64 v36, 0, 1, s16
	v_lshlrev_b32_e32 v39, v39, v107
	v_add_nc_u32_e32 v71, 0xfffffc10, v69
	v_med3_i32 v35, v35, 0, 13
	v_and_or_b32 v68, 0xffe, v45, v32
	v_sub_nc_u32_e32 v43, 0x3f1, v113
	v_cmp_ne_u32_e64 s15, v39, v33
	v_or_b32_e32 v33, 0x1000, v64
	v_and_or_b32 v69, 0xffe, v38, v36
	v_cmp_ne_u32_e64 s17, 0, v40
	v_lshrrev_b32_e32 v37, 8, v61
	v_bfe_u32 v105, v61, 20, 11
	v_lshrrev_b32_e32 v111, v35, v33
	v_lshrrev_b32_e32 v31, 16, v61
	v_med3_i32 v61, v43, 0, 13
	v_or_b32_e32 v38, 0x1000, v69
	v_cndmask_b32_e64 v40, 0, 1, s17
	v_lshlrev_b32_e32 v32, v35, v111
	v_or_b32_e32 v35, 0x1000, v68
	v_sub_nc_u32_e32 v41, 0x3f1, v91
	v_add_nc_u32_e32 v39, 0xfffffc10, v75
	v_add_nc_u32_e32 v45, 0xfffffc10, v76
	v_cmp_ne_u32_e64 s16, v32, v33
	v_sub_nc_u32_e32 v33, 0x3f1, v114
	v_add_nc_u32_e32 v43, 0xfffffc10, v82
	v_lshrrev_b32_e32 v75, v61, v35
	v_add_nc_u32_e32 v32, 0xfffffc10, v88
	v_and_or_b32 v82, 0xffe, v63, v70
	v_med3_i32 v33, v33, 0, 13
	v_and_or_b32 v70, 0xffe, v115, v40
	v_sub_nc_u32_e32 v40, 0x3f1, v105
	v_and_or_b32 v88, 0xffe, v90, v60
	v_add_nc_u32_e32 v46, 0xfffffc10, v85
	v_lshrrev_b32_e32 v76, v33, v38
	v_lshlrev_b32_e32 v36, v61, v75
	v_cmp_ne_u32_e64 s18, 0, v58
	v_med3_i32 v58, v92, 0, 13
	v_med3_i32 v61, v40, 0, 13
	v_lshlrev_b32_e32 v33, v33, v76
	v_med3_i32 v85, v41, 0, 13
	v_add_nc_u32_e32 v40, 0xfffffc10, v98
	v_or_b32_e32 v92, 0x1000, v88
	v_or_b32_e32 v98, 0x1000, v82
	v_cmp_ne_u32_e64 s17, v36, v35
	v_cndmask_b32_e64 v36, 0, 1, s18
	v_cmp_ne_u32_e64 s18, v33, v38
	v_add_nc_u32_e32 v41, 0xfffffc10, v100
	v_add_nc_u32_e32 v38, 0xfffffc10, v102
	v_lshrrev_b32_e32 v100, v85, v92
	v_lshrrev_b32_e32 v102, v58, v98
	v_add_nc_u32_e32 v73, 0xfffffc10, v72
	v_and_or_b32 v72, 0xffe, v37, v36
	v_add_nc_u32_e32 v36, 0xfffffc10, v104
	v_lshlrev_b32_e32 v85, v85, v100
	v_lshlrev_b32_e32 v104, v58, v102
	v_add_nc_u32_e32 v89, 0xfffffc10, v91
	v_add_nc_u32_e32 v91, 0xfffffc10, v62
	;; [unrolled: 1-line block ×3, first 2 shown]
	v_cmp_ne_u32_e64 s21, v85, v92
	v_cndmask_b32_e64 v92, 0, 1, vcc_lo
	v_cmp_ne_u32_e32 vcc_lo, v104, v98
	v_lshl_or_b32 v98, v89, 12, v88
	v_sub_nc_u32_e32 v35, 0x3f1, v116
	v_cndmask_b32_e64 v85, 0, 1, s21
	v_or_b32_e32 v77, v77, v92
	v_cndmask_b32_e64 v104, 0, 1, vcc_lo
	v_cndmask_b32_e64 v92, 0, 1, s1
	v_cmp_gt_i32_e32 vcc_lo, 1, v89
	v_or_b32_e32 v85, v100, v85
	v_cndmask_b32_e64 v100, 0, 1, s0
	v_or_b32_e32 v102, v102, v104
	v_cndmask_b32_e64 v104, 0, 1, s2
	;; [unrolled: 2-line block ×8, first 2 shown]
	v_or_b32_e32 v92, v93, v92
	v_lshl_or_b32 v93, v91, 12, v57
	v_cndmask_b32_e32 v85, v98, v85, vcc_lo
	v_cmp_gt_i32_e32 vcc_lo, 1, v91
	v_or_b32_e32 v87, v87, v100
	v_cndmask_b32_e64 v100, 0, 1, s9
	v_or_b32_e32 v94, v94, v104
	v_lshl_or_b32 v104, v109, 12, v82
	v_cndmask_b32_e32 v93, v93, v77, vcc_lo
	v_cmp_gt_i32_e32 vcc_lo, 1, v109
	v_or_b32_e32 v95, v95, v100
	v_cndmask_b32_e64 v100, 0, 1, s10
	v_cndmask_b32_e64 v98, 0, 1, s11
	v_lshl_or_b32 v77, v74, 12, v56
	v_cndmask_b32_e32 v102, v104, v102, vcc_lo
	v_cmp_gt_i32_e32 vcc_lo, 1, v74
	v_or_b32_e32 v96, v96, v100
	v_cndmask_b32_e64 v100, 0, 1, s12
	v_or_b32_e32 v97, v97, v98
	v_lshl_or_b32 v98, v71, 12, v55
	v_cndmask_b32_e32 v105, v77, v78, vcc_lo
	v_cmp_gt_i32_e32 vcc_lo, 1, v71
	v_cndmask_b32_e64 v104, 0, 1, s13
	v_or_b32_e32 v99, v99, v100
	v_lshl_or_b32 v100, v73, 12, v54
	v_cndmask_b32_e64 v77, 0, 1, s14
	v_cndmask_b32_e32 v98, v98, v80, vcc_lo
	v_cmp_gt_i32_e32 vcc_lo, 1, v73
	v_or_b32_e32 v78, v101, v104
	v_lshl_or_b32 v101, v39, 12, v34
	v_add_nc_u32_e32 v44, 0xfffffc10, v79
	v_med3_i32 v35, v35, 0, 13
	v_cndmask_b32_e32 v100, v100, v81, vcc_lo
	v_cmp_gt_i32_e32 vcc_lo, 1, v39
	v_or_b32_e32 v37, 0x1000, v70
	v_or_b32_e32 v77, v103, v77
	v_lshl_or_b32 v103, v45, 12, v42
	v_lshl_or_b32 v104, v44, 12, v47
	v_cndmask_b32_e32 v101, v101, v83, vcc_lo
	v_cmp_gt_i32_e32 vcc_lo, 1, v45
	v_lshrrev_b32_e32 v79, v35, v37
	v_or_b32_e32 v33, 0x1000, v72
	v_lshl_or_b32 v83, v43, 12, v49
	v_add_nc_u32_e32 v63, 0xfffffc10, v110
	v_cndmask_b32_e32 v103, v103, v84, vcc_lo
	v_cmp_gt_i32_e32 vcc_lo, 1, v44
	v_lshlrev_b32_e32 v35, v35, v79
	v_lshrrev_b32_e32 v90, v61, v33
	v_cndmask_b32_e64 v84, 0, 1, s18
	v_cndmask_b32_e64 v80, 0, 1, s15
	v_cndmask_b32_e32 v86, v104, v86, vcc_lo
	v_cmp_gt_i32_e32 vcc_lo, 1, v43
	v_cmp_ne_u32_e64 s19, v35, v37
	v_add_nc_u32_e32 v37, 0xfffffc10, v106
	v_cndmask_b32_e64 v106, 0, 1, s17
	v_lshl_or_b32 v104, v46, 12, v50
	v_cndmask_b32_e32 v87, v83, v87, vcc_lo
	v_cmp_gt_i32_e32 vcc_lo, 1, v46
	v_lshlrev_b32_e32 v60, v61, v90
	v_or_b32_e32 v75, v75, v106
	v_cndmask_b32_e64 v106, 0, 1, s19
	v_or_b32_e32 v76, v76, v84
	v_lshl_or_b32 v84, v32, 12, v51
	v_cndmask_b32_e32 v92, v104, v92, vcc_lo
	v_cmp_gt_i32_e32 vcc_lo, 1, v32
	v_cmp_ne_u32_e64 s20, v60, v33
	v_or_b32_e32 v79, v79, v106
	v_lshl_or_b32 v106, v40, 12, v52
	v_lshl_or_b32 v104, v41, 12, v53
	v_cndmask_b32_e32 v94, v84, v94, vcc_lo
	v_cmp_gt_i32_e32 vcc_lo, 1, v40
	v_cndmask_b32_e64 v83, 0, 1, s20
	v_lshl_or_b32 v84, v36, 12, v65
	v_add_nc_u32_e32 v35, 0xfffffc10, v108
	v_add_nc_u32_e32 v62, 0xfffffc10, v112
	v_cndmask_b32_e32 v95, v106, v95, vcc_lo
	v_cmp_gt_i32_e32 vcc_lo, 1, v41
	v_or_b32_e32 v83, v90, v83
	v_lshl_or_b32 v90, v38, 12, v48
	v_lshl_or_b32 v106, v37, 12, v66
	v_cndmask_b32_e64 v81, 0, 1, s16
	v_cndmask_b32_e32 v96, v104, v96, vcc_lo
	v_cmp_gt_i32_e32 vcc_lo, 1, v38
	v_lshl_or_b32 v104, v35, 12, v67
	v_or_b32_e32 v80, v107, v80
	v_add_nc_u32_e32 v33, 0xfffffc10, v113
	v_or_b32_e32 v81, v111, v81
	v_cndmask_b32_e32 v90, v90, v97, vcc_lo
	v_cmp_gt_i32_e32 vcc_lo, 1, v36
	v_add_nc_u32_e32 v61, 0xfffffc10, v114
	v_lshl_or_b32 v97, v33, 12, v68
	v_add_nc_u32_e32 v60, 0xfffffc10, v116
	v_cmp_ne_u32_e64 s17, 0, v88
	v_cndmask_b32_e32 v99, v84, v99, vcc_lo
	v_cmp_gt_i32_e32 vcc_lo, 1, v37
	v_lshl_or_b32 v84, v63, 12, v59
	v_cmp_gt_i32_e64 s46, 31, v89
	v_lshrrev_b32_e32 v15, 16, v15
	v_cndmask_b32_e32 v106, v106, v78, vcc_lo
	v_cmp_gt_i32_e32 vcc_lo, 1, v35
	v_lshl_or_b32 v78, v62, 12, v64
	v_cndmask_b32_e32 v104, v104, v77, vcc_lo
	v_cmp_gt_i32_e32 vcc_lo, 1, v63
	v_lshl_or_b32 v77, v61, 12, v69
	;; [unrolled: 3-line block ×3, first 2 shown]
	v_lshrrev_b32_e32 v84, 2, v105
	v_cndmask_b32_e32 v108, v78, v81, vcc_lo
	v_cmp_gt_i32_e32 vcc_lo, 1, v33
	v_lshl_or_b32 v78, v58, 12, v72
	v_lshrrev_b32_e32 v81, 2, v93
	v_cndmask_b32_e32 v97, v97, v75, vcc_lo
	v_cmp_gt_i32_e32 vcc_lo, 1, v61
	v_and_b32_e32 v75, 7, v85
	v_cndmask_b32_e32 v110, v77, v76, vcc_lo
	v_cmp_gt_i32_e32 vcc_lo, 1, v60
	v_and_b32_e32 v76, 7, v93
	v_and_b32_e32 v77, 7, v102
	v_cmp_lt_i32_e64 s31, 5, v75
	v_cmp_eq_u32_e64 s33, 3, v75
	v_cndmask_b32_e32 v111, v80, v79, vcc_lo
	v_cmp_gt_i32_e32 vcc_lo, 1, v58
	v_and_b32_e32 v75, 7, v98
	v_cmp_lt_i32_e64 s36, 5, v76
	v_cmp_eq_u32_e64 s37, 3, v76
	v_and_b32_e32 v76, 7, v100
	v_cndmask_b32_e32 v112, v78, v83, vcc_lo
	v_and_b32_e32 v78, 7, v105
	v_cmp_lt_i32_e64 s38, 5, v77
	v_cmp_eq_u32_e64 s39, 3, v77
	v_and_b32_e32 v77, 7, v101
	v_cmp_lt_i32_e64 s42, 5, v75
	v_cmp_lt_i32_e64 s40, 5, v78
	v_cmp_eq_u32_e64 s41, 3, v78
	v_and_b32_e32 v78, 7, v103
	v_cmp_eq_u32_e64 s43, 3, v75
	v_and_b32_e32 v75, 7, v86
	v_cmp_lt_i32_e64 s44, 5, v76
	v_cmp_eq_u32_e64 s45, 3, v76
	v_and_b32_e32 v76, 7, v87
	v_cmp_lt_i32_e64 s5, 5, v77
	;; [unrolled: 3-line block ×7, first 2 shown]
	v_cmp_eq_u32_e64 s16, 3, v78
	v_and_b32_e32 v78, 7, v99
	v_cmp_lt_i32_e32 vcc_lo, 5, v75
	v_cmp_eq_u32_e64 s1, 3, v75
	v_add_co_u32 v75, s3, v4, s50
	v_cmp_lt_i32_e64 s0, 5, v76
	v_cmp_eq_u32_e64 s2, 3, v76
	v_add_co_ci_u32_e64 v76, s3, s51, v5, s3
	v_cmp_lt_i32_e64 s3, 5, v77
	v_cmp_eq_u32_e64 s4, 3, v77
	v_and_b32_e32 v77, 7, v106
	v_cmp_lt_i32_e64 s19, 5, v78
	v_cmp_eq_u32_e64 s20, 3, v78
	v_and_b32_e32 v78, 7, v104
	v_cndmask_b32_e64 v79, 0, 1, s17
	v_cmp_lt_i32_e64 s17, 5, v77
	v_cmp_eq_u32_e64 s18, 3, v77
	v_and_b32_e32 v77, 7, v107
	v_cmp_lt_i32_e64 s22, 5, v78
	v_cmp_eq_u32_e64 s25, 3, v78
	v_and_b32_e32 v78, 7, v108
	v_lshrrev_b32_e32 v80, 2, v85
	v_cmp_lt_i32_e64 s21, 5, v77
	v_cmp_eq_u32_e64 s23, 3, v77
	v_and_b32_e32 v77, 7, v97
	v_cmp_lt_i32_e64 s24, 5, v78
	v_cmp_eq_u32_e64 s26, 3, v78
	v_and_b32_e32 v78, 7, v110
	s_or_b32 s31, s33, s31
	v_cmp_lt_i32_e64 s27, 5, v77
	v_cmp_eq_u32_e64 s28, 3, v77
	v_and_b32_e32 v77, 7, v111
	v_add_co_ci_u32_e64 v80, s31, 0, v80, s31
	v_cmp_lt_i32_e64 s29, 5, v78
	v_cmp_eq_u32_e64 s30, 3, v78
	v_and_b32_e32 v78, 7, v112
	v_cmp_lt_i32_e64 s31, 5, v77
	v_cmp_eq_u32_e64 s34, 3, v77
	v_cndmask_b32_e64 v80, 0x7c00, v80, s46
	v_add_co_u32 v77, s46, v75, s50
	v_cmp_lt_i32_e64 s33, 5, v78
	v_cmp_eq_u32_e64 s35, 3, v78
	v_add_co_ci_u32_e64 v78, s46, s51, v76, s46
	v_lshl_or_b32 v79, v79, 9, 0x7c00
	v_cmp_eq_u32_e64 s46, 0x40f, v89
	s_or_b32 s36, s37, s36
	s_sub_i32 s37, s47, s48
	v_add_co_ci_u32_e64 v81, s36, 0, v81, s36
	v_cndmask_b32_e64 v85, v80, v79, s46
	v_cmp_ne_u32_e64 s46, 0, v57
	v_cmp_gt_i32_e64 s36, 31, v91
	v_mad_u64_u32 v[79:80], null, 0xffffdc00, s48, v[77:78]
	v_lshrrev_b32_e32 v93, 2, v100
	v_cndmask_b32_e64 v57, 0, 1, s46
	v_cndmask_b32_e64 v81, 0x7c00, v81, s36
	v_cmp_ne_u32_e64 s36, 0, v82
	v_lshrrev_b32_e32 v100, 2, v103
	s_or_b32 s5, s6, s5
	v_lshl_or_b32 v57, v57, 9, 0x7c00
	v_add_nc_u32_e32 v80, s37, v80
	v_cndmask_b32_e64 v83, 0, 1, s36
	v_cmp_eq_u32_e64 s36, 0x40f, v91
	v_lshrrev_b32_e32 v86, 2, v86
	v_lshrrev_b32_e32 v95, 2, v95
	;; [unrolled: 1-line block ×3, first 2 shown]
	v_lshl_or_b32 v83, v83, 9, 0x7c00
	v_cndmask_b32_e64 v88, v81, v57, s36
	v_add_co_u32 v81, s36, v79, s50
	v_add_co_ci_u32_e64 v82, s36, s51, v80, s36
	v_cmp_ne_u32_e64 s36, 0, v56
	v_lshrrev_b32_e32 v57, 2, v102
	v_lshrrev_b32_e32 v96, 2, v96
	s_or_b32 vcc_lo, s1, vcc_lo
	v_lshrrev_b32_e32 v92, 2, v92
	v_cndmask_b32_e64 v56, 0, 1, s36
	s_or_b32 s36, s39, s38
	v_add_co_ci_u32_e32 v95, vcc_lo, 0, v95, vcc_lo
	v_add_co_ci_u32_e64 v57, s36, 0, v57, s36
	s_or_b32 s36, s41, s40
	v_lshl_or_b32 v89, v56, 9, 0x7c00
	v_add_co_ci_u32_e64 v84, s36, 0, v84, s36
	v_cmp_gt_i32_e64 s36, 31, v109
	v_lshrrev_b32_e32 v90, 2, v90
	s_or_b32 vcc_lo, s2, s0
	v_lshrrev_b32_e32 v94, 2, v94
	v_add_co_ci_u32_e32 v96, vcc_lo, 0, v96, vcc_lo
	v_cndmask_b32_e64 v57, 0x7c00, v57, s36
	v_cmp_gt_i32_e64 s36, 31, v74
	s_or_b32 vcc_lo, s4, s3
	v_lshrrev_b32_e32 v99, 2, v99
	v_add_co_ci_u32_e32 v90, vcc_lo, 0, v90, vcc_lo
	v_cndmask_b32_e64 v84, 0x7c00, v84, s36
	v_cmp_eq_u32_e64 s36, 0x40f, v109
	s_or_b32 vcc_lo, s23, s21
	v_lshrrev_b32_e32 v102, 2, v104
	v_lshrrev_b32_e32 v97, 2, v97
	;; [unrolled: 1-line block ×3, first 2 shown]
	v_cndmask_b32_e64 v91, v57, v83, s36
	v_add_co_u32 v56, s36, v81, s50
	v_add_co_ci_u32_e64 v57, s36, s51, v82, s36
	v_cmp_ne_u32_e64 s36, 0, v55
	v_lshrrev_b32_e32 v104, 2, v111
	v_lshrrev_b32_e32 v105, 2, v112
	v_and_or_b32 v19, 0x8000, v19, v85
	v_and_or_b32 v18, 0x8000, v18, v88
	v_cndmask_b32_e64 v55, 0, 1, s36
	v_cmp_eq_u32_e64 s36, 0x40f, v74
	v_lshrrev_b32_e32 v74, 2, v98
	v_and_or_b32 v17, 0x8000, v17, v91
	v_lshl_or_b32 v55, v55, 9, 0x7c00
	v_cndmask_b32_e64 v89, v84, v89, s36
	v_add_co_u32 v83, s36, v56, s50
	v_add_co_ci_u32_e64 v84, s36, s51, v57, s36
	v_cmp_ne_u32_e64 s36, 0, v54
	v_and_or_b32 v16, 0x8000, v16, v89
	v_cndmask_b32_e64 v54, 0, 1, s36
	s_or_b32 s36, s43, s42
	v_add_co_ci_u32_e64 v74, s36, 0, v74, s36
	s_or_b32 s36, s45, s44
	v_lshl_or_b32 v98, v54, 9, 0x7c00
	v_add_co_ci_u32_e64 v93, s36, 0, v93, s36
	v_cmp_gt_i32_e64 s36, 31, v71
	v_cndmask_b32_e64 v74, 0x7c00, v74, s36
	v_cmp_gt_i32_e64 s36, 31, v73
	v_cndmask_b32_e64 v93, 0x7c00, v93, s36
	v_cmp_eq_u32_e64 s36, 0x40f, v71
	v_cndmask_b32_e64 v71, v74, v55, s36
	v_add_co_u32 v54, s36, v83, s50
	v_add_co_ci_u32_e64 v55, s36, s51, v84, s36
	v_cmp_eq_u32_e64 s36, 0x40f, v73
	v_and_or_b32 v15, 0x8000, v15, v71
	v_cndmask_b32_e64 v93, v93, v98, s36
	v_lshrrev_b32_e32 v98, 2, v101
	v_add_co_u32 v73, s36, v54, s50
	v_add_co_ci_u32_e64 v74, s36, s51, v55, s36
	v_add_co_ci_u32_e64 v98, s5, 0, v98, s5
	s_or_b32 s5, s8, s7
	v_cmp_ne_u32_e64 s36, 0, v34
	v_add_co_ci_u32_e64 v100, s5, 0, v100, s5
	s_or_b32 s5, s12, s9
	v_lshrrev_b32_e32 v101, 2, v106
	v_add_co_ci_u32_e64 v86, s5, 0, v86, s5
	s_or_b32 s5, s13, s10
	v_lshrrev_b32_e32 v106, 2, v107
	v_add_co_ci_u32_e64 v87, s5, 0, v87, s5
	s_or_b32 s5, s14, s11
	v_lshrrev_b32_e32 v107, 2, v108
	v_add_co_ci_u32_e64 v92, s5, 0, v92, s5
	s_or_b32 s5, s16, s15
	v_cndmask_b32_e64 v34, 0, 1, s36
	v_add_co_ci_u32_e64 v94, s5, 0, v94, s5
	v_cmp_ne_u32_e64 s36, 0, v42
	v_cmp_gt_i32_e64 s5, 31, v39
	v_add_co_ci_u32_e32 v106, vcc_lo, 0, v106, vcc_lo
	s_or_b32 vcc_lo, s26, s24
	v_cndmask_b32_e64 v42, 0, 1, s36
	v_add_co_ci_u32_e32 v107, vcc_lo, 0, v107, vcc_lo
	v_cmp_ne_u32_e64 s36, 0, v47
	v_lshl_or_b32 v34, v34, 9, 0x7c00
	v_cndmask_b32_e64 v98, 0x7c00, v98, s5
	v_cmp_gt_i32_e64 s5, 31, v45
	v_cmp_eq_u32_e32 vcc_lo, 0x40f, v39
	v_cndmask_b32_e64 v47, 0, 1, s36
	v_cmp_ne_u32_e64 s36, 0, v49
	v_lshl_or_b32 v42, v42, 9, 0x7c00
	v_cndmask_b32_e64 v100, 0x7c00, v100, s5
	v_cmp_gt_i32_e64 s5, 31, v44
	v_cndmask_b32_e32 v34, v98, v34, vcc_lo
	v_cmp_eq_u32_e32 vcc_lo, 0x40f, v45
	v_cndmask_b32_e64 v49, 0, 1, s36
	v_cmp_ne_u32_e64 s36, 0, v50
	v_lshl_or_b32 v47, v47, 9, 0x7c00
	v_cndmask_b32_e64 v86, 0x7c00, v86, s5
	v_cmp_gt_i32_e64 s5, 31, v43
	v_cndmask_b32_e32 v39, v100, v42, vcc_lo
	v_cmp_eq_u32_e32 vcc_lo, 0x40f, v44
	v_cndmask_b32_e64 v50, 0, 1, s36
	v_lshl_or_b32 v49, v49, 9, 0x7c00
	v_cndmask_b32_e64 v87, 0x7c00, v87, s5
	v_cmp_gt_i32_e64 s5, 31, v46
	v_cndmask_b32_e32 v42, v86, v47, vcc_lo
	v_cmp_eq_u32_e32 vcc_lo, 0x40f, v43
	v_lshl_or_b32 v50, v50, 9, 0x7c00
	v_cmp_ne_u32_e64 s36, 0, v51
	v_cndmask_b32_e64 v92, 0x7c00, v92, s5
	s_or_b32 s5, s20, s19
	v_cndmask_b32_e32 v43, v87, v49, vcc_lo
	v_cmp_eq_u32_e32 vcc_lo, 0x40f, v46
	v_add_co_ci_u32_e64 v99, s5, 0, v99, s5
	s_or_b32 s5, s18, s17
	v_cndmask_b32_e64 v51, 0, 1, s36
	v_cndmask_b32_e32 v44, v92, v50, vcc_lo
	v_cmp_gt_i32_e32 vcc_lo, 31, v36
	v_add_co_ci_u32_e64 v101, s5, 0, v101, s5
	s_or_b32 s5, s25, s22
	v_cmp_ne_u32_e64 s36, 0, v65
	v_cndmask_b32_e32 v45, 0x7c00, v99, vcc_lo
	v_cmp_gt_i32_e32 vcc_lo, 31, v37
	v_add_co_ci_u32_e64 v102, s5, 0, v102, s5
	s_or_b32 s5, s28, s27
	v_cndmask_b32_e64 v65, 0, 1, s36
	v_cndmask_b32_e32 v46, 0x7c00, v101, vcc_lo
	v_cmp_gt_i32_e32 vcc_lo, 31, v35
	v_add_co_ci_u32_e64 v97, s5, 0, v97, s5
	s_or_b32 s5, s30, s29
	v_cmp_ne_u32_e64 s36, 0, v66
	v_cndmask_b32_e32 v47, 0x7c00, v102, vcc_lo
	v_cmp_gt_i32_e32 vcc_lo, 31, v33
	;; [unrolled: 10-line block ×3, first 2 shown]
	v_add_co_ci_u32_e64 v105, s5, 0, v105, s5
	v_cmp_gt_i32_e64 s5, 31, v32
	v_cndmask_b32_e64 v67, 0, 1, s36
	v_cndmask_b32_e32 v86, 0x7c00, v104, vcc_lo
	v_cmp_gt_i32_e32 vcc_lo, 31, v58
	v_cmp_ne_u32_e64 s36, 0, v68
	v_lshl_or_b32 v51, v51, 9, 0x7c00
	v_cndmask_b32_e64 v94, 0x7c00, v94, s5
	v_lshl_or_b32 v65, v65, 9, 0x7c00
	v_cndmask_b32_e32 v87, 0x7c00, v105, vcc_lo
	v_cmp_eq_u32_e32 vcc_lo, 0x40f, v32
	v_cndmask_b32_e64 v68, 0, 1, s36
	v_cmp_ne_u32_e64 s36, 0, v69
	v_lshl_or_b32 v66, v66, 9, 0x7c00
	v_lshl_or_b32 v67, v67, 9, 0x7c00
	v_cndmask_b32_e32 v32, v94, v51, vcc_lo
	v_cmp_gt_i32_e32 vcc_lo, 31, v40
	v_cndmask_b32_e64 v69, 0, 1, s36
	v_cmp_ne_u32_e64 s36, 0, v70
	v_lshl_or_b32 v68, v68, 9, 0x7c00
	v_and_or_b32 v11, 0x8000, v11, v34
	v_cndmask_b32_e32 v51, 0x7c00, v95, vcc_lo
	v_cmp_gt_i32_e32 vcc_lo, 31, v41
	v_cndmask_b32_e64 v70, 0, 1, s36
	v_cmp_ne_u32_e64 s36, 0, v72
	v_lshl_or_b32 v69, v69, 9, 0x7c00
	v_and_or_b32 v10, 0x8000, v10, v39
	;; [unrolled: 6-line block ×5, first 2 shown]
	v_cndmask_b32_e32 v95, 0x7c00, v107, vcc_lo
	v_cmp_eq_u32_e32 vcc_lo, 0x40f, v40
	v_cndmask_b32_e64 v48, 0, 1, s36
	v_lshl_or_b32 v53, v53, 9, 0x7c00
	v_cmp_ne_u32_e64 s36, 0, v59
	v_and_or_b32 v7, 0x8000, v7, v44
	v_cndmask_b32_e32 v40, v51, v52, vcc_lo
	v_cmp_eq_u32_e32 vcc_lo, 0x40f, v41
	v_lshl_or_b32 v48, v48, 9, 0x7c00
	v_cndmask_b32_e64 v59, 0, 1, s36
	v_cmp_ne_u32_e64 s36, 0, v64
	v_and_or_b32 v20, 0x8000, v20, v40
	v_cndmask_b32_e32 v41, v92, v53, vcc_lo
	v_cmp_eq_u32_e32 vcc_lo, 0x40f, v38
	v_lshl_or_b32 v59, v59, 9, 0x7c00
	v_cndmask_b32_e64 v64, 0, 1, s36
	v_and_b32_e32 v20, 0xffff, v20
	v_and_or_b32 v21, 0x8000, v21, v41
	v_cndmask_b32_e32 v38, v90, v48, vcc_lo
	v_cmp_eq_u32_e32 vcc_lo, 0x40f, v36
	v_lshl_or_b32 v64, v64, 9, 0x7c00
	v_and_or_b32 v6, 0x8000, v6, v32
	v_and_b32_e32 v21, 0xffff, v21
	v_and_or_b32 v22, 0x8000, v22, v38
	v_cndmask_b32_e32 v36, v45, v65, vcc_lo
	v_cmp_eq_u32_e32 vcc_lo, 0x40f, v37
	v_lshl_or_b32 v19, v19, 16, v20
	v_lshl_or_b32 v18, v18, 16, v21
	v_and_b32_e32 v22, 0xffff, v22
	v_and_or_b32 v23, 0x8000, v23, v36
	v_cndmask_b32_e32 v37, v46, v66, vcc_lo
	v_cmp_eq_u32_e32 vcc_lo, 0x40f, v35
	v_lshl_or_b32 v17, v17, 16, v22
	v_and_b32_e32 v23, 0xffff, v23
	v_and_or_b32 v24, 0x8000, v24, v37
	v_cndmask_b32_e32 v35, v47, v67, vcc_lo
	v_cmp_eq_u32_e32 vcc_lo, 0x40f, v63
	;; [unrolled: 5-line block ×7, first 2 shown]
	v_lshl_or_b32 v9, v9, 16, v28
	v_and_b32_e32 v29, 0xffff, v29
	v_and_or_b32 v30, 0x8000, v30, v42
	v_cndmask_b32_e32 v43, v87, v72, vcc_lo
	v_lshl_or_b32 v8, v8, 16, v29
	v_and_b32_e32 v30, 0xffff, v30
	v_and_or_b32 v31, 0x8000, v31, v43
	v_lshl_or_b32 v7, v7, 16, v30
	v_and_b32_e32 v31, 0xffff, v31
	v_lshl_or_b32 v6, v6, 16, v31
	global_store_dword v[12:13], v19, off
	global_store_dword v[0:1], v18, off
	;; [unrolled: 1-line block ×12, first 2 shown]
.LBB0_2:
	s_endpgm
	.section	.rodata,"a",@progbits
	.p2align	6, 0x0
	.amdhsa_kernel bluestein_single_fwd_len3072_dim1_half_op_CI_CI
		.amdhsa_group_segment_fixed_size 12288
		.amdhsa_private_segment_fixed_size 0
		.amdhsa_kernarg_size 104
		.amdhsa_user_sgpr_count 6
		.amdhsa_user_sgpr_private_segment_buffer 1
		.amdhsa_user_sgpr_dispatch_ptr 0
		.amdhsa_user_sgpr_queue_ptr 0
		.amdhsa_user_sgpr_kernarg_segment_ptr 1
		.amdhsa_user_sgpr_dispatch_id 0
		.amdhsa_user_sgpr_flat_scratch_init 0
		.amdhsa_user_sgpr_private_segment_size 0
		.amdhsa_wavefront_size32 1
		.amdhsa_uses_dynamic_stack 0
		.amdhsa_system_sgpr_private_segment_wavefront_offset 0
		.amdhsa_system_sgpr_workgroup_id_x 1
		.amdhsa_system_sgpr_workgroup_id_y 0
		.amdhsa_system_sgpr_workgroup_id_z 0
		.amdhsa_system_sgpr_workgroup_info 0
		.amdhsa_system_vgpr_workitem_id 0
		.amdhsa_next_free_vgpr 117
		.amdhsa_next_free_sgpr 52
		.amdhsa_reserve_vcc 1
		.amdhsa_reserve_flat_scratch 0
		.amdhsa_float_round_mode_32 0
		.amdhsa_float_round_mode_16_64 0
		.amdhsa_float_denorm_mode_32 3
		.amdhsa_float_denorm_mode_16_64 3
		.amdhsa_dx10_clamp 1
		.amdhsa_ieee_mode 1
		.amdhsa_fp16_overflow 0
		.amdhsa_workgroup_processor_mode 1
		.amdhsa_memory_ordered 1
		.amdhsa_forward_progress 0
		.amdhsa_shared_vgpr_count 0
		.amdhsa_exception_fp_ieee_invalid_op 0
		.amdhsa_exception_fp_denorm_src 0
		.amdhsa_exception_fp_ieee_div_zero 0
		.amdhsa_exception_fp_ieee_overflow 0
		.amdhsa_exception_fp_ieee_underflow 0
		.amdhsa_exception_fp_ieee_inexact 0
		.amdhsa_exception_int_div_zero 0
	.end_amdhsa_kernel
	.text
.Lfunc_end0:
	.size	bluestein_single_fwd_len3072_dim1_half_op_CI_CI, .Lfunc_end0-bluestein_single_fwd_len3072_dim1_half_op_CI_CI
                                        ; -- End function
	.section	.AMDGPU.csdata,"",@progbits
; Kernel info:
; codeLenInByte = 19264
; NumSgprs: 54
; NumVgprs: 117
; ScratchSize: 0
; MemoryBound: 0
; FloatMode: 240
; IeeeMode: 1
; LDSByteSize: 12288 bytes/workgroup (compile time only)
; SGPRBlocks: 6
; VGPRBlocks: 14
; NumSGPRsForWavesPerEU: 54
; NumVGPRsForWavesPerEU: 117
; Occupancy: 8
; WaveLimiterHint : 1
; COMPUTE_PGM_RSRC2:SCRATCH_EN: 0
; COMPUTE_PGM_RSRC2:USER_SGPR: 6
; COMPUTE_PGM_RSRC2:TRAP_HANDLER: 0
; COMPUTE_PGM_RSRC2:TGID_X_EN: 1
; COMPUTE_PGM_RSRC2:TGID_Y_EN: 0
; COMPUTE_PGM_RSRC2:TGID_Z_EN: 0
; COMPUTE_PGM_RSRC2:TIDIG_COMP_CNT: 0
	.text
	.p2alignl 6, 3214868480
	.fill 48, 4, 3214868480
	.type	__hip_cuid_b250ff027fb56d42,@object ; @__hip_cuid_b250ff027fb56d42
	.section	.bss,"aw",@nobits
	.globl	__hip_cuid_b250ff027fb56d42
__hip_cuid_b250ff027fb56d42:
	.byte	0                               ; 0x0
	.size	__hip_cuid_b250ff027fb56d42, 1

	.ident	"AMD clang version 19.0.0git (https://github.com/RadeonOpenCompute/llvm-project roc-6.4.0 25133 c7fe45cf4b819c5991fe208aaa96edf142730f1d)"
	.section	".note.GNU-stack","",@progbits
	.addrsig
	.addrsig_sym __hip_cuid_b250ff027fb56d42
	.amdgpu_metadata
---
amdhsa.kernels:
  - .args:
      - .actual_access:  read_only
        .address_space:  global
        .offset:         0
        .size:           8
        .value_kind:     global_buffer
      - .actual_access:  read_only
        .address_space:  global
        .offset:         8
        .size:           8
        .value_kind:     global_buffer
      - .actual_access:  read_only
        .address_space:  global
        .offset:         16
        .size:           8
        .value_kind:     global_buffer
      - .actual_access:  read_only
        .address_space:  global
        .offset:         24
        .size:           8
        .value_kind:     global_buffer
      - .actual_access:  read_only
        .address_space:  global
        .offset:         32
        .size:           8
        .value_kind:     global_buffer
      - .offset:         40
        .size:           8
        .value_kind:     by_value
      - .address_space:  global
        .offset:         48
        .size:           8
        .value_kind:     global_buffer
      - .address_space:  global
        .offset:         56
        .size:           8
        .value_kind:     global_buffer
      - .address_space:  global
        .offset:         64
        .size:           8
        .value_kind:     global_buffer
      - .address_space:  global
        .offset:         72
        .size:           8
        .value_kind:     global_buffer
      - .offset:         80
        .size:           4
        .value_kind:     by_value
      - .address_space:  global
        .offset:         88
        .size:           8
        .value_kind:     global_buffer
      - .address_space:  global
        .offset:         96
        .size:           8
        .value_kind:     global_buffer
    .group_segment_fixed_size: 12288
    .kernarg_segment_align: 8
    .kernarg_segment_size: 104
    .language:       OpenCL C
    .language_version:
      - 2
      - 0
    .max_flat_workgroup_size: 256
    .name:           bluestein_single_fwd_len3072_dim1_half_op_CI_CI
    .private_segment_fixed_size: 0
    .sgpr_count:     54
    .sgpr_spill_count: 0
    .symbol:         bluestein_single_fwd_len3072_dim1_half_op_CI_CI.kd
    .uniform_work_group_size: 1
    .uses_dynamic_stack: false
    .vgpr_count:     117
    .vgpr_spill_count: 0
    .wavefront_size: 32
    .workgroup_processor_mode: 1
amdhsa.target:   amdgcn-amd-amdhsa--gfx1030
amdhsa.version:
  - 1
  - 2
...

	.end_amdgpu_metadata
